;; amdgpu-corpus repo=zjin-lcf/HeCBench kind=compiled arch=gfx1100 opt=O3
	.text
	.amdgcn_target "amdgcn-amd-amdhsa--gfx1100"
	.amdhsa_code_object_version 6
	.protected	_Z9fft1D_512P15HIP_vector_typeIdLj2EE ; -- Begin function _Z9fft1D_512P15HIP_vector_typeIdLj2EE
	.globl	_Z9fft1D_512P15HIP_vector_typeIdLj2EE
	.p2align	8
	.type	_Z9fft1D_512P15HIP_vector_typeIdLj2EE,@function
_Z9fft1D_512P15HIP_vector_typeIdLj2EE:  ; @_Z9fft1D_512P15HIP_vector_typeIdLj2EE
; %bb.0:
	s_load_b64 s[0:1], s[0:1], 0x0
	v_lshl_add_u32 v1, s15, 9, v0
	s_movk_i32 s8, 0x70
	s_mov_b32 s4, 0x54442d18
	s_mov_b32 s6, 0x54442d18
	s_mov_b32 s14, 0x6dc9c883
	v_ashrrev_i32_e32 v2, 31, v1
	s_mov_b32 s16, 0x33145c00
	s_mov_b32 s18, 0x252049c0
	;; [unrolled: 1-line block ×4, first 2 shown]
	v_lshlrev_b64 v[1:2], 4, v[1:2]
	s_mov_b32 s24, 0xa17f65f6
	s_mov_b32 s26, 0x19f4ec90
	;; [unrolled: 1-line block ×8, first 2 shown]
	s_waitcnt lgkmcnt(0)
	v_add_co_u32 v7, vcc_lo, s0, v1
	v_add_co_ci_u32_e32 v8, vcc_lo, s1, v2, vcc_lo
	s_mov_b32 s0, 0x667f3bcd
	s_delay_alu instid0(VALU_DEP_2) | instskip(NEXT) | instid1(VALU_DEP_2)
	v_add_co_u32 v5, vcc_lo, 0x1000, v7
	v_add_co_ci_u32_e32 v6, vcc_lo, 0, v8, vcc_lo
	s_mov_b32 s1, 0x3fe6a09e
	s_mov_b32 s42, 0x11110bb3
	s_clause 0x7
	global_load_b128 v[1:4], v[7:8], off offset:3072
	global_load_b128 v[9:12], v[5:6], off offset:3072
	;; [unrolled: 1-line block ×6, first 2 shown]
	global_load_b128 v[29:32], v[7:8], off
	global_load_b128 v[33:36], v[5:6], off
	s_mov_b32 s33, 16
	s_mov_b32 s5, 0xc01921fb
	;; [unrolled: 1-line block ×22, first 2 shown]
	s_getpc_b64 s[2:3]
	s_add_u32 s2, s2, __const._Z9fft1D_512P15HIP_vector_typeIdLj2EE.reversed@rel32@lo+8
	s_addc_u32 s3, s3, __const._Z9fft1D_512P15HIP_vector_typeIdLj2EE.reversed@rel32@hi+16
	s_waitcnt vmcnt(6)
	v_add_f64 v[5:6], v[1:2], -v[9:10]
	v_add_f64 v[37:38], v[3:4], -v[11:12]
	s_waitcnt vmcnt(4)
	v_add_f64 v[39:40], v[13:14], -v[17:18]
	v_add_f64 v[41:42], v[15:16], -v[19:20]
	v_add_f64 v[13:14], v[13:14], v[17:18]
	v_add_f64 v[15:16], v[15:16], v[19:20]
	;; [unrolled: 1-line block ×4, first 2 shown]
	s_waitcnt vmcnt(2)
	v_add_f64 v[9:10], v[21:22], -v[25:26]
	v_add_f64 v[11:12], v[23:24], -v[27:28]
	v_add_f64 v[21:22], v[21:22], v[25:26]
	v_add_f64 v[23:24], v[23:24], v[27:28]
	s_waitcnt vmcnt(0)
	v_add_f64 v[25:26], v[29:30], -v[33:34]
	v_add_f64 v[43:44], v[37:38], -v[5:6]
	v_add_f64 v[5:6], -v[37:38], -v[5:6]
	v_add_f64 v[17:18], v[39:40], v[41:42]
	v_add_f64 v[19:20], v[41:42], -v[39:40]
	v_add_f64 v[39:40], v[29:30], v[33:34]
	v_add_f64 v[41:42], v[31:32], v[35:36]
	v_add_f64 v[27:28], v[13:14], -v[1:2]
	v_add_f64 v[29:30], v[15:16], -v[3:4]
	;; [unrolled: 1-line block ×3, first 2 shown]
	v_fma_f64 v[33:34], v[9:10], 0, v[11:12]
	v_fma_f64 v[9:10], v[11:12], 0, -v[9:10]
	v_add_f64 v[13:14], v[13:14], v[1:2]
	v_add_f64 v[15:16], v[15:16], v[3:4]
	v_mul_f64 v[37:38], v[43:44], s[0:1]
	v_mul_f64 v[5:6], v[5:6], s[0:1]
	v_add_f64 v[43:44], v[39:40], v[21:22]
	v_add_f64 v[45:46], v[41:42], v[23:24]
	v_add_f64 v[21:22], v[39:40], -v[21:22]
	v_add_f64 v[23:24], v[41:42], -v[23:24]
	v_fma_f64 v[39:40], v[27:28], 0, v[29:30]
	v_fma_f64 v[27:28], v[29:30], 0, -v[27:28]
	v_add_f64 v[29:30], v[25:26], v[33:34]
	v_add_f64 v[41:42], v[31:32], v[9:10]
	v_add_f64 v[47:48], v[25:26], -v[33:34]
	v_add_f64 v[49:50], v[31:32], -v[9:10]
	v_cvt_f64_u32_e32 v[9:10], v0
	v_add_nc_u32_e64 v34, 0, 16
	v_add_nc_u32_e64 v33, 0, 32
	;; [unrolled: 1-line block ×4, first 2 shown]
	v_fma_f64 v[11:12], v[17:18], s[0:1], -v[37:38]
	v_fma_f64 v[35:36], v[19:20], s[0:1], -v[5:6]
	v_fma_f64 v[37:38], v[17:18], s[0:1], v[37:38]
	v_fma_f64 v[5:6], v[19:20], s[0:1], v[5:6]
	v_add_f64 v[1:2], v[43:44], v[13:14]
	v_add_f64 v[3:4], v[45:46], v[15:16]
	s_movk_i32 s0, 0x50
	s_movk_i32 s1, 0x60
	v_add_f64 v[18:19], v[23:24], v[27:28]
	v_fma_f64 v[51:52], v[11:12], 0, v[35:36]
	v_fma_f64 v[35:36], v[35:36], 0, -v[11:12]
	v_add_f64 v[12:13], v[43:44], -v[13:14]
	v_add_f64 v[14:15], v[45:46], -v[15:16]
	v_add_f64 v[16:17], v[21:22], v[39:40]
	v_add_f64 v[20:21], v[21:22], -v[39:40]
	v_add_f64 v[22:23], v[23:24], -v[27:28]
	v_add_f64 v[24:25], v[29:30], v[37:38]
	v_add_f64 v[26:27], v[41:42], v[5:6]
	v_add_f64 v[38:39], v[29:30], -v[37:38]
	v_add_f64 v[40:41], v[41:42], -v[5:6]
	v_mov_b32_e32 v11, 0
	v_add_nc_u32_e64 v37, s0, 0
	v_add_f64 v[42:43], v[47:48], v[51:52]
	v_add_f64 v[44:45], v[49:50], v[35:36]
	v_add_f64 v[46:47], v[47:48], -v[51:52]
	v_add_f64 v[48:49], v[49:50], -v[35:36]
	v_add_nc_u32_e64 v36, s1, 0
	v_add_nc_u32_e64 v35, s8, 0
	s_clause 0x7
	scratch_store_b128 off, v[1:4], off
	scratch_store_b128 off, v[12:15], off offset:16
	scratch_store_b128 off, v[16:19], off offset:32
	;; [unrolled: 1-line block ×7, first 2 shown]
	s_branch .LBB0_2
.LBB0_1:                                ;   in Loop: Header=BB0_2 Depth=1
	s_or_b32 exec_lo, exec_lo, s0
	v_mul_f64 v[19:20], v[15:16], v[15:16]
	v_mul_f64 v[21:22], v[27:28], v[27:28]
	s_delay_alu instid0(VALU_DEP_3) | instskip(NEXT) | instid1(VALU_DEP_4)
	v_mul_f64 v[53:54], v[17:18], 0.5
	v_mul_f64 v[59:60], v[29:30], 0.5
	v_cmp_class_f64_e64 s0, v[13:14], 0x1f8
	v_and_b32_e32 v12, 1, v38
	v_lshlrev_b32_e32 v13, 30, v40
	s_delay_alu instid0(VALU_DEP_2) | instskip(NEXT) | instid1(VALU_DEP_2)
	v_cmp_eq_u32_e32 vcc_lo, 0, v12
	v_xor_b32_e32 v13, v13, v14
	v_fma_f64 v[23:24], v[19:20], s[36:37], s[34:35]
	v_fma_f64 v[25:26], v[21:22], s[36:37], s[34:35]
	;; [unrolled: 1-line block ×3, first 2 shown]
	v_mul_f64 v[43:44], v[19:20], 0.5
	v_fma_f64 v[45:46], v[21:22], s[22:23], s[20:21]
	v_mul_f64 v[47:48], v[21:22], 0.5
	v_mul_f64 v[55:56], v[15:16], -v[19:20]
	v_mul_f64 v[61:62], v[27:28], -v[21:22]
	v_fma_f64 v[23:24], v[19:20], v[23:24], s[38:39]
	v_fma_f64 v[25:26], v[21:22], v[25:26], s[38:39]
	;; [unrolled: 1-line block ×3, first 2 shown]
	v_add_f64 v[49:50], -v[43:44], 1.0
	v_fma_f64 v[45:46], v[21:22], v[45:46], s[24:25]
	v_add_f64 v[51:52], -v[47:48], 1.0
	v_fma_f64 v[23:24], v[19:20], v[23:24], s[40:41]
	v_fma_f64 v[25:26], v[21:22], v[25:26], s[40:41]
	;; [unrolled: 1-line block ×3, first 2 shown]
	v_add_f64 v[57:58], -v[49:50], 1.0
	v_fma_f64 v[45:46], v[21:22], v[45:46], s[26:27]
	v_add_f64 v[63:64], -v[51:52], 1.0
	v_fma_f64 v[23:24], v[19:20], v[23:24], s[42:43]
	v_fma_f64 v[25:26], v[21:22], v[25:26], s[42:43]
	;; [unrolled: 1-line block ×3, first 2 shown]
	v_add_f64 v[43:44], v[57:58], -v[43:44]
	v_fma_f64 v[45:46], v[21:22], v[45:46], s[28:29]
	v_add_f64 v[47:48], v[63:64], -v[47:48]
	v_fma_f64 v[23:24], v[55:56], v[23:24], v[53:54]
	v_fma_f64 v[25:26], v[61:62], v[25:26], v[59:60]
	v_mul_f64 v[53:54], v[19:20], v[19:20]
	v_fma_f64 v[41:42], v[19:20], v[41:42], s[30:31]
	v_fma_f64 v[43:44], v[15:16], -v[17:18], v[43:44]
	v_fma_f64 v[17:18], v[19:20], v[23:24], -v[17:18]
	v_mul_f64 v[19:20], v[21:22], v[21:22]
	v_fma_f64 v[23:24], v[21:22], v[45:46], s[30:31]
	v_fma_f64 v[45:46], v[27:28], -v[29:30], v[47:48]
	v_fma_f64 v[21:22], v[21:22], v[25:26], -v[29:30]
	v_fma_f64 v[25:26], v[53:54], v[41:42], v[43:44]
	v_fma_f64 v[17:18], v[55:56], s[44:45], v[17:18]
	s_delay_alu instid0(VALU_DEP_4) | instskip(NEXT) | instid1(VALU_DEP_4)
	v_fma_f64 v[19:20], v[19:20], v[23:24], v[45:46]
	v_fma_f64 v[21:22], v[61:62], s[44:45], v[21:22]
	s_delay_alu instid0(VALU_DEP_4) | instskip(NEXT) | instid1(VALU_DEP_4)
	v_add_f64 v[23:24], v[49:50], v[25:26]
	v_add_f64 v[15:16], v[15:16], -v[17:18]
	s_delay_alu instid0(VALU_DEP_4) | instskip(NEXT) | instid1(VALU_DEP_4)
	v_add_f64 v[17:18], v[51:52], v[19:20]
	v_add_f64 v[19:20], v[27:28], -v[21:22]
	s_delay_alu instid0(VALU_DEP_3) | instskip(NEXT) | instid1(VALU_DEP_4)
	v_dual_cndmask_b32 v12, v15, v23 :: v_dual_and_b32 v15, 1, v40
	v_xor_b32_e32 v16, 0x80000000, v16
	v_and_b32_e32 v13, 0x80000000, v13
	s_delay_alu instid0(VALU_DEP_3) | instskip(NEXT) | instid1(VALU_DEP_4)
	v_cndmask_b32_e64 v12, 0, v12, s0
	v_cmp_eq_u32_e64 s1, 0, v15
	s_delay_alu instid0(VALU_DEP_4) | instskip(NEXT) | instid1(VALU_DEP_2)
	v_cndmask_b32_e32 v16, v16, v24, vcc_lo
	v_cndmask_b32_e64 v15, v18, v20, s1
	v_cndmask_b32_e64 v14, v17, v19, s1
	s_delay_alu instid0(VALU_DEP_2) | instskip(NEXT) | instid1(VALU_DEP_2)
	v_xor_b32_e32 v15, v15, v13
	v_cndmask_b32_e64 v13, 0, v14, s0
	s_delay_alu instid0(VALU_DEP_2) | instskip(SKIP_1) | instid1(VALU_DEP_1)
	v_cndmask_b32_e64 v14, 0x7ff80000, v15, s0
	s_waitcnt vmcnt(0)
	v_mul_f64 v[17:18], v[5:6], v[13:14]
	v_mul_f64 v[14:15], v[3:4], v[13:14]
	v_lshlrev_b32_e32 v13, 30, v38
	s_delay_alu instid0(VALU_DEP_1) | instskip(NEXT) | instid1(VALU_DEP_1)
	v_and_b32_e32 v13, 0x80000000, v13
	v_xor_b32_e32 v13, v16, v13
	s_delay_alu instid0(VALU_DEP_1) | instskip(NEXT) | instid1(VALU_DEP_1)
	v_cndmask_b32_e64 v13, 0x7ff80000, v13, s0
	v_fma_f64 v[3:4], v[3:4], v[12:13], -v[17:18]
	v_fma_f64 v[5:6], v[5:6], v[12:13], v[14:15]
	v_add_nc_u32_e64 v12, s33, 0
	s_add_i32 s33, s33, 16
	s_add_u32 s2, s2, 4
	s_addc_u32 s3, s3, 0
	s_cmpk_lg_i32 s33, 0x80
	scratch_store_b128 v12, v[3:6], off
	s_cbranch_scc0 .LBB0_10
.LBB0_2:                                ; =>This Inner Loop Header: Depth=1
	s_add_i32 s0, s33, 0
                                        ; implicit-def: $vgpr38
                                        ; implicit-def: $vgpr15_vgpr16
                                        ; implicit-def: $vgpr17_vgpr18
	scratch_load_b128 v[3:6], off, s0
	s_load_b32 s0, s[2:3], 0x0
	s_waitcnt lgkmcnt(0)
	v_cvt_f64_i32_e32 v[12:13], s0
	s_delay_alu instid0(VALU_DEP_1) | instskip(NEXT) | instid1(VALU_DEP_1)
	v_mul_f64 v[12:13], v[12:13], s[4:5]
	v_ldexp_f64 v[12:13], v[12:13], -9
	s_delay_alu instid0(VALU_DEP_1) | instskip(NEXT) | instid1(VALU_DEP_1)
	v_mul_f64 v[13:14], v[12:13], v[9:10]
	v_cmp_ngt_f64_e64 s1, 0x41d00000, |v[13:14]|
	v_trig_preop_f64 v[23:24], |v[13:14]|, 0
	v_trig_preop_f64 v[21:22], |v[13:14]|, 1
	v_ldexp_f64 v[25:26], |v[13:14]|, 0xffffff80
	v_trig_preop_f64 v[19:20], |v[13:14]|, 2
	v_and_b32_e32 v39, 0x7fffffff, v14
	s_and_saveexec_b32 s0, s1
	s_delay_alu instid0(SALU_CYCLE_1)
	s_xor_b32 s10, exec_lo, s0
	s_cbranch_execz .LBB0_4
; %bb.3:                                ;   in Loop: Header=BB0_2 Depth=1
	v_cmp_le_f64_e64 vcc_lo, 0x7b000000, |v[13:14]|
	s_mov_b32 s8, s6
	s_mov_b32 s13, s11
	s_delay_alu instid0(VALU_DEP_4) | instskip(NEXT) | instid1(VALU_DEP_1)
	v_dual_cndmask_b32 v16, v39, v26 :: v_dual_cndmask_b32 v15, v13, v25
	v_mul_f64 v[17:18], v[23:24], v[15:16]
	v_mul_f64 v[27:28], v[21:22], v[15:16]
	;; [unrolled: 1-line block ×3, first 2 shown]
	s_delay_alu instid0(VALU_DEP_3) | instskip(NEXT) | instid1(VALU_DEP_3)
	v_fma_f64 v[29:30], v[23:24], v[15:16], -v[17:18]
	v_fma_f64 v[50:51], v[21:22], v[15:16], -v[27:28]
	s_delay_alu instid0(VALU_DEP_3) | instskip(NEXT) | instid1(VALU_DEP_3)
	v_fma_f64 v[15:16], v[19:20], v[15:16], -v[48:49]
	v_add_f64 v[40:41], v[27:28], v[29:30]
	s_delay_alu instid0(VALU_DEP_1) | instskip(SKIP_1) | instid1(VALU_DEP_2)
	v_add_f64 v[42:43], v[40:41], -v[27:28]
	v_add_f64 v[46:47], v[17:18], v[40:41]
	v_add_f64 v[44:45], v[40:41], -v[42:43]
	v_add_f64 v[29:30], v[29:30], -v[42:43]
	s_delay_alu instid0(VALU_DEP_3) | instskip(SKIP_1) | instid1(VALU_DEP_4)
	v_ldexp_f64 v[42:43], v[46:47], -2
	v_add_f64 v[17:18], v[46:47], -v[17:18]
	v_add_f64 v[27:28], v[27:28], -v[44:45]
	v_add_f64 v[44:45], v[48:49], v[50:51]
	s_delay_alu instid0(VALU_DEP_4) | instskip(NEXT) | instid1(VALU_DEP_4)
	v_cmp_neq_f64_e64 vcc_lo, 0x7ff00000, |v[42:43]|
	v_add_f64 v[17:18], v[40:41], -v[17:18]
	s_delay_alu instid0(VALU_DEP_4) | instskip(SKIP_1) | instid1(VALU_DEP_2)
	v_add_f64 v[27:28], v[29:30], v[27:28]
	v_fract_f64_e32 v[29:30], v[42:43]
	v_add_f64 v[40:41], v[44:45], v[27:28]
	s_delay_alu instid0(VALU_DEP_2) | instskip(NEXT) | instid1(VALU_DEP_1)
	v_dual_cndmask_b32 v30, 0, v30 :: v_dual_cndmask_b32 v29, 0, v29
	v_ldexp_f64 v[29:30], v[29:30], 2
	s_delay_alu instid0(VALU_DEP_3) | instskip(SKIP_1) | instid1(VALU_DEP_2)
	v_add_f64 v[42:43], v[17:18], v[40:41]
	v_add_f64 v[52:53], v[40:41], -v[44:45]
	v_add_f64 v[46:47], v[42:43], v[29:30]
	s_delay_alu instid0(VALU_DEP_2) | instskip(SKIP_2) | instid1(VALU_DEP_4)
	v_add_f64 v[58:59], v[40:41], -v[52:53]
	v_add_f64 v[27:28], v[27:28], -v[52:53]
	;; [unrolled: 1-line block ×3, first 2 shown]
	v_cmp_gt_f64_e32 vcc_lo, 0, v[46:47]
	v_add_f64 v[46:47], v[44:45], -v[48:49]
	s_delay_alu instid0(VALU_DEP_3) | instskip(SKIP_1) | instid1(VALU_DEP_3)
	v_add_f64 v[17:18], v[40:41], -v[17:18]
	v_cndmask_b32_e64 v12, 0, 0x40100000, vcc_lo
	v_add_f64 v[56:57], v[44:45], -v[46:47]
	v_add_f64 v[46:47], v[50:51], -v[46:47]
	;; [unrolled: 1-line block ×3, first 2 shown]
	s_delay_alu instid0(VALU_DEP_4) | instskip(NEXT) | instid1(VALU_DEP_4)
	v_add_f64 v[29:30], v[29:30], v[11:12]
	v_add_f64 v[50:51], v[48:49], -v[56:57]
	s_delay_alu instid0(VALU_DEP_3) | instskip(NEXT) | instid1(VALU_DEP_3)
	v_add_f64 v[27:28], v[27:28], v[44:45]
	v_add_f64 v[54:55], v[42:43], v[29:30]
	s_delay_alu instid0(VALU_DEP_3) | instskip(NEXT) | instid1(VALU_DEP_2)
	v_add_f64 v[46:47], v[46:47], v[50:51]
	v_cvt_i32_f64_e32 v12, v[54:55]
	s_delay_alu instid0(VALU_DEP_2) | instskip(NEXT) | instid1(VALU_DEP_2)
	v_add_f64 v[27:28], v[46:47], v[27:28]
	v_cvt_f64_i32_e32 v[52:53], v12
	s_delay_alu instid0(VALU_DEP_2) | instskip(NEXT) | instid1(VALU_DEP_2)
	v_add_f64 v[15:16], v[15:16], v[27:28]
	v_add_f64 v[29:30], v[29:30], -v[52:53]
	s_delay_alu instid0(VALU_DEP_2) | instskip(NEXT) | instid1(VALU_DEP_2)
	v_add_f64 v[15:16], v[17:18], v[15:16]
	v_add_f64 v[44:45], v[42:43], v[29:30]
	s_delay_alu instid0(VALU_DEP_1) | instskip(SKIP_1) | instid1(VALU_DEP_2)
	v_add_f64 v[27:28], v[44:45], -v[29:30]
	v_cmp_le_f64_e32 vcc_lo, 0.5, v[44:45]
	v_add_f64 v[17:18], v[42:43], -v[27:28]
	v_add_co_ci_u32_e64 v38, s0, 0, v12, vcc_lo
	v_cndmask_b32_e64 v12, 0, 0x3ff00000, vcc_lo
	s_delay_alu instid0(VALU_DEP_3) | instskip(NEXT) | instid1(VALU_DEP_2)
	v_add_f64 v[15:16], v[15:16], v[17:18]
	v_add_f64 v[17:18], v[44:45], -v[11:12]
	s_delay_alu instid0(VALU_DEP_1) | instskip(NEXT) | instid1(VALU_DEP_1)
	v_add_f64 v[27:28], v[17:18], v[15:16]
	v_mul_f64 v[29:30], v[27:28], s[8:9]
	v_add_f64 v[17:18], v[27:28], -v[17:18]
	s_delay_alu instid0(VALU_DEP_2) | instskip(NEXT) | instid1(VALU_DEP_2)
	v_fma_f64 v[40:41], v[27:28], s[8:9], -v[29:30]
	v_add_f64 v[15:16], v[15:16], -v[17:18]
	s_delay_alu instid0(VALU_DEP_2) | instskip(NEXT) | instid1(VALU_DEP_1)
	v_fma_f64 v[17:18], v[27:28], s[12:13], v[40:41]
	v_fma_f64 v[17:18], v[15:16], s[8:9], v[17:18]
	s_delay_alu instid0(VALU_DEP_1) | instskip(NEXT) | instid1(VALU_DEP_1)
	v_add_f64 v[15:16], v[29:30], v[17:18]
	v_add_f64 v[27:28], v[15:16], -v[29:30]
	s_delay_alu instid0(VALU_DEP_1)
	v_add_f64 v[17:18], v[17:18], -v[27:28]
	s_and_not1_saveexec_b32 s0, s10
	s_cbranch_execz .LBB0_6
	s_branch .LBB0_5
.LBB0_4:                                ;   in Loop: Header=BB0_2 Depth=1
	s_and_not1_saveexec_b32 s0, s10
	s_cbranch_execz .LBB0_6
.LBB0_5:                                ;   in Loop: Header=BB0_2 Depth=1
	v_mul_f64 v[15:16], |v[13:14]|, s[14:15]
	s_mov_b32 s10, s16
	s_delay_alu instid0(VALU_DEP_1) | instskip(NEXT) | instid1(VALU_DEP_1)
	v_rndne_f64_e32 v[27:28], v[15:16]
	v_fma_f64 v[15:16], v[27:28], s[6:7], |v[13:14]|
	v_mul_f64 v[17:18], v[27:28], s[16:17]
	v_cvt_i32_f64_e32 v38, v[27:28]
	s_delay_alu instid0(VALU_DEP_3) | instskip(NEXT) | instid1(VALU_DEP_3)
	v_fma_f64 v[40:41], v[27:28], s[16:17], v[15:16]
	v_add_f64 v[29:30], v[15:16], v[17:18]
	s_delay_alu instid0(VALU_DEP_1) | instskip(NEXT) | instid1(VALU_DEP_3)
	v_add_f64 v[15:16], v[15:16], -v[29:30]
	v_add_f64 v[29:30], v[29:30], -v[40:41]
	s_delay_alu instid0(VALU_DEP_2) | instskip(SKIP_1) | instid1(VALU_DEP_2)
	v_add_f64 v[15:16], v[15:16], v[17:18]
	v_fma_f64 v[17:18], v[27:28], s[10:11], v[17:18]
	v_add_f64 v[15:16], v[29:30], v[15:16]
	s_delay_alu instid0(VALU_DEP_1) | instskip(NEXT) | instid1(VALU_DEP_1)
	v_add_f64 v[15:16], v[15:16], -v[17:18]
	v_fma_f64 v[17:18], v[27:28], s[18:19], v[15:16]
	s_delay_alu instid0(VALU_DEP_1) | instskip(NEXT) | instid1(VALU_DEP_1)
	v_add_f64 v[15:16], v[40:41], v[17:18]
	v_add_f64 v[29:30], v[15:16], -v[40:41]
	s_delay_alu instid0(VALU_DEP_1)
	v_add_f64 v[17:18], v[17:18], -v[29:30]
.LBB0_6:                                ;   in Loop: Header=BB0_2 Depth=1
	s_or_b32 exec_lo, exec_lo, s0
                                        ; implicit-def: $vgpr40
                                        ; implicit-def: $vgpr27_vgpr28
                                        ; implicit-def: $vgpr29_vgpr30
	s_and_saveexec_b32 s0, s1
	s_delay_alu instid0(SALU_CYCLE_1)
	s_xor_b32 s1, exec_lo, s0
	s_cbranch_execz .LBB0_8
; %bb.7:                                ;   in Loop: Header=BB0_2 Depth=1
	v_cmp_le_f64_e64 vcc_lo, 0x7b000000, |v[13:14]|
	s_mov_b32 s8, s6
	s_mov_b32 s13, s11
	s_delay_alu instid0(VALU_DEP_4) | instskip(NEXT) | instid1(VALU_DEP_1)
	v_dual_cndmask_b32 v26, v39, v26 :: v_dual_cndmask_b32 v25, v13, v25
	v_mul_f64 v[27:28], v[23:24], v[25:26]
	v_mul_f64 v[29:30], v[21:22], v[25:26]
	;; [unrolled: 1-line block ×3, first 2 shown]
	s_delay_alu instid0(VALU_DEP_3) | instskip(NEXT) | instid1(VALU_DEP_3)
	v_fma_f64 v[23:24], v[23:24], v[25:26], -v[27:28]
	v_fma_f64 v[21:22], v[21:22], v[25:26], -v[29:30]
	s_delay_alu instid0(VALU_DEP_3) | instskip(NEXT) | instid1(VALU_DEP_3)
	v_fma_f64 v[19:20], v[19:20], v[25:26], -v[47:48]
	v_add_f64 v[39:40], v[29:30], v[23:24]
	s_delay_alu instid0(VALU_DEP_1) | instskip(SKIP_1) | instid1(VALU_DEP_2)
	v_add_f64 v[41:42], v[39:40], -v[29:30]
	v_add_f64 v[45:46], v[27:28], v[39:40]
	v_add_f64 v[43:44], v[39:40], -v[41:42]
	v_add_f64 v[23:24], v[23:24], -v[41:42]
	s_delay_alu instid0(VALU_DEP_3) | instskip(SKIP_1) | instid1(VALU_DEP_4)
	v_ldexp_f64 v[41:42], v[45:46], -2
	v_add_f64 v[27:28], v[45:46], -v[27:28]
	v_add_f64 v[29:30], v[29:30], -v[43:44]
	v_add_f64 v[43:44], v[47:48], v[21:22]
	s_delay_alu instid0(VALU_DEP_4) | instskip(NEXT) | instid1(VALU_DEP_4)
	v_cmp_neq_f64_e64 vcc_lo, 0x7ff00000, |v[41:42]|
	v_add_f64 v[27:28], v[39:40], -v[27:28]
	s_delay_alu instid0(VALU_DEP_4) | instskip(SKIP_1) | instid1(VALU_DEP_2)
	v_add_f64 v[23:24], v[23:24], v[29:30]
	v_fract_f64_e32 v[29:30], v[41:42]
	v_add_f64 v[39:40], v[43:44], v[23:24]
	s_delay_alu instid0(VALU_DEP_2) | instskip(NEXT) | instid1(VALU_DEP_1)
	v_dual_cndmask_b32 v30, 0, v30 :: v_dual_cndmask_b32 v29, 0, v29
	v_ldexp_f64 v[29:30], v[29:30], 2
	s_delay_alu instid0(VALU_DEP_3) | instskip(SKIP_1) | instid1(VALU_DEP_2)
	v_add_f64 v[41:42], v[27:28], v[39:40]
	v_add_f64 v[49:50], v[39:40], -v[43:44]
	v_add_f64 v[45:46], v[41:42], v[29:30]
	s_delay_alu instid0(VALU_DEP_2) | instskip(SKIP_2) | instid1(VALU_DEP_4)
	v_add_f64 v[55:56], v[39:40], -v[49:50]
	v_add_f64 v[23:24], v[23:24], -v[49:50]
	;; [unrolled: 1-line block ×3, first 2 shown]
	v_cmp_gt_f64_e32 vcc_lo, 0, v[45:46]
	v_add_f64 v[45:46], v[43:44], -v[47:48]
	s_delay_alu instid0(VALU_DEP_3) | instskip(SKIP_1) | instid1(VALU_DEP_3)
	v_add_f64 v[25:26], v[39:40], -v[25:26]
	v_cndmask_b32_e64 v12, 0, 0x40100000, vcc_lo
	v_add_f64 v[53:54], v[43:44], -v[45:46]
	v_add_f64 v[21:22], v[21:22], -v[45:46]
	;; [unrolled: 1-line block ×3, first 2 shown]
	s_delay_alu instid0(VALU_DEP_4) | instskip(NEXT) | instid1(VALU_DEP_4)
	v_add_f64 v[29:30], v[29:30], v[11:12]
	v_add_f64 v[45:46], v[47:48], -v[53:54]
	s_delay_alu instid0(VALU_DEP_3) | instskip(NEXT) | instid1(VALU_DEP_3)
	v_add_f64 v[23:24], v[23:24], v[43:44]
	v_add_f64 v[51:52], v[41:42], v[29:30]
	s_delay_alu instid0(VALU_DEP_3) | instskip(NEXT) | instid1(VALU_DEP_2)
	v_add_f64 v[21:22], v[21:22], v[45:46]
	v_cvt_i32_f64_e32 v12, v[51:52]
	s_delay_alu instid0(VALU_DEP_2) | instskip(NEXT) | instid1(VALU_DEP_2)
	v_add_f64 v[21:22], v[21:22], v[23:24]
	v_cvt_f64_i32_e32 v[49:50], v12
	s_delay_alu instid0(VALU_DEP_2) | instskip(NEXT) | instid1(VALU_DEP_2)
	v_add_f64 v[19:20], v[19:20], v[21:22]
	v_add_f64 v[29:30], v[29:30], -v[49:50]
	s_delay_alu instid0(VALU_DEP_2) | instskip(NEXT) | instid1(VALU_DEP_2)
	v_add_f64 v[19:20], v[25:26], v[19:20]
	v_add_f64 v[23:24], v[41:42], v[29:30]
	s_delay_alu instid0(VALU_DEP_1) | instskip(SKIP_1) | instid1(VALU_DEP_2)
	v_add_f64 v[21:22], v[23:24], -v[29:30]
	v_cmp_le_f64_e32 vcc_lo, 0.5, v[23:24]
	v_add_f64 v[21:22], v[41:42], -v[21:22]
	v_add_co_ci_u32_e64 v40, s0, 0, v12, vcc_lo
	v_cndmask_b32_e64 v12, 0, 0x3ff00000, vcc_lo
	s_delay_alu instid0(VALU_DEP_3) | instskip(NEXT) | instid1(VALU_DEP_2)
	v_add_f64 v[19:20], v[19:20], v[21:22]
	v_add_f64 v[21:22], v[23:24], -v[11:12]
	s_delay_alu instid0(VALU_DEP_1) | instskip(NEXT) | instid1(VALU_DEP_1)
	v_add_f64 v[23:24], v[21:22], v[19:20]
	v_mul_f64 v[25:26], v[23:24], s[8:9]
	v_add_f64 v[21:22], v[23:24], -v[21:22]
	s_delay_alu instid0(VALU_DEP_2) | instskip(NEXT) | instid1(VALU_DEP_2)
	v_fma_f64 v[27:28], v[23:24], s[8:9], -v[25:26]
	v_add_f64 v[19:20], v[19:20], -v[21:22]
	s_delay_alu instid0(VALU_DEP_2) | instskip(NEXT) | instid1(VALU_DEP_1)
	v_fma_f64 v[21:22], v[23:24], s[12:13], v[27:28]
	v_fma_f64 v[19:20], v[19:20], s[8:9], v[21:22]
	s_delay_alu instid0(VALU_DEP_1) | instskip(NEXT) | instid1(VALU_DEP_1)
	v_add_f64 v[27:28], v[25:26], v[19:20]
	v_add_f64 v[21:22], v[27:28], -v[25:26]
	s_delay_alu instid0(VALU_DEP_1)
	v_add_f64 v[29:30], v[19:20], -v[21:22]
	s_and_not1_saveexec_b32 s0, s1
	s_cbranch_execz .LBB0_1
	s_branch .LBB0_9
.LBB0_8:                                ;   in Loop: Header=BB0_2 Depth=1
	s_and_not1_saveexec_b32 s0, s1
	s_cbranch_execz .LBB0_1
.LBB0_9:                                ;   in Loop: Header=BB0_2 Depth=1
	v_mul_f64 v[19:20], |v[13:14]|, s[14:15]
	s_mov_b32 s10, s16
	s_delay_alu instid0(VALU_DEP_1) | instskip(NEXT) | instid1(VALU_DEP_1)
	v_rndne_f64_e32 v[19:20], v[19:20]
	v_fma_f64 v[21:22], v[19:20], s[6:7], |v[13:14]|
	v_mul_f64 v[23:24], v[19:20], s[16:17]
	v_cvt_i32_f64_e32 v40, v[19:20]
	s_delay_alu instid0(VALU_DEP_3) | instskip(NEXT) | instid1(VALU_DEP_3)
	v_fma_f64 v[29:30], v[19:20], s[16:17], v[21:22]
	v_add_f64 v[25:26], v[21:22], v[23:24]
	s_delay_alu instid0(VALU_DEP_1) | instskip(NEXT) | instid1(VALU_DEP_3)
	v_add_f64 v[21:22], v[21:22], -v[25:26]
	v_add_f64 v[25:26], v[25:26], -v[29:30]
	s_delay_alu instid0(VALU_DEP_2) | instskip(SKIP_1) | instid1(VALU_DEP_2)
	v_add_f64 v[21:22], v[21:22], v[23:24]
	v_fma_f64 v[23:24], v[19:20], s[10:11], v[23:24]
	v_add_f64 v[21:22], v[25:26], v[21:22]
	s_delay_alu instid0(VALU_DEP_1) | instskip(NEXT) | instid1(VALU_DEP_1)
	v_add_f64 v[21:22], v[21:22], -v[23:24]
	v_fma_f64 v[21:22], v[19:20], s[18:19], v[21:22]
	s_delay_alu instid0(VALU_DEP_1) | instskip(NEXT) | instid1(VALU_DEP_1)
	v_add_f64 v[27:28], v[29:30], v[21:22]
	v_add_f64 v[23:24], v[27:28], -v[29:30]
	s_delay_alu instid0(VALU_DEP_1)
	v_add_f64 v[29:30], v[21:22], -v[23:24]
	s_branch .LBB0_1
.LBB0_10:
	s_clause 0x6
	scratch_load_b64 v[3:4], off, off offset:64
	scratch_load_b64 v[9:10], off, off offset:48
	;; [unrolled: 1-line block ×7, first 2 shown]
	v_and_b32_e32 v38, 7, v0
	v_lshlrev_b32_e32 v6, 3, v0
	v_lshrrev_b32_e32 v39, 3, v0
	s_mov_b32 s0, 0x667f3bcd
	s_mov_b32 s1, 0x3fe6a09e
	v_mul_u32_u24_e32 v0, 0x42, v38
	v_add_nc_u32_e32 v21, 0x800, v6
	s_mov_b32 s4, 0x54442d18
	s_mov_b32 s6, 0x54442d18
	;; [unrolled: 1-line block ×3, first 2 shown]
	v_add_lshl_u32 v22, v0, v39, 3
	s_mov_b32 s16, 0x33145c00
	s_mov_b32 s18, 0x252049c0
	;; [unrolled: 1-line block ×35, first 2 shown]
	s_getpc_b64 s[2:3]
	s_add_u32 s2, s2, __const._Z9fft1D_512P15HIP_vector_typeIdLj2EE.reversed@rel32@lo+8
	s_addc_u32 s3, s3, __const._Z9fft1D_512P15HIP_vector_typeIdLj2EE.reversed@rel32@hi+16
	s_waitcnt vmcnt(6)
	ds_store_2addr_b64 v6, v[1:2], v[3:4] offset1:66
	s_waitcnt vmcnt(1)
	ds_store_2addr_b64 v6, v[11:12], v[17:18] offset0:132 offset1:198
	s_waitcnt vmcnt(0)
	ds_store_2addr_b64 v21, v[13:14], v[19:20] offset0:8 offset1:74
	ds_store_2addr_b64 v21, v[9:10], v[15:16] offset0:140 offset1:206
	s_waitcnt lgkmcnt(0)
	s_waitcnt_vscnt null, 0x0
	s_barrier
	buffer_gl0_inv
	ds_load_2addr_b64 v[0:3], v22 offset1:8
	ds_load_2addr_b64 v[9:12], v22 offset0:16 offset1:24
	ds_load_2addr_b64 v[13:16], v22 offset0:32 offset1:40
	;; [unrolled: 1-line block ×3, first 2 shown]
	s_waitcnt lgkmcnt(3)
	s_clause 0x1
	scratch_store_b64 off, v[0:1], off
	scratch_store_b64 off, v[2:3], off offset:16
	s_waitcnt lgkmcnt(2)
	s_clause 0x1
	scratch_store_b64 off, v[9:10], off offset:32
	scratch_store_b64 off, v[11:12], off offset:48
	s_waitcnt lgkmcnt(1)
	s_clause 0x1
	scratch_store_b64 off, v[13:14], off offset:64
	;; [unrolled: 4-line block ×3, first 2 shown]
	scratch_store_b64 off, v[19:20], off offset:112
	s_waitcnt_vscnt null, 0x0
	s_barrier
	buffer_gl0_inv
	s_clause 0x7
	scratch_load_b64 v[0:1], off, off offset:8
	scratch_load_b64 v[2:3], off, off offset:72
	;; [unrolled: 1-line block ×8, first 2 shown]
	s_waitcnt vmcnt(6)
	ds_store_2addr_b64 v6, v[0:1], v[2:3] offset1:66
	s_waitcnt vmcnt(1)
	ds_store_2addr_b64 v6, v[9:10], v[15:16] offset0:132 offset1:198
	s_waitcnt vmcnt(0)
	ds_store_2addr_b64 v21, v[11:12], v[17:18] offset0:8 offset1:74
	ds_store_2addr_b64 v21, v[4:5], v[13:14] offset0:140 offset1:206
	s_waitcnt lgkmcnt(0)
	s_barrier
	buffer_gl0_inv
	ds_load_2addr_b64 v[0:3], v22 offset1:8
	ds_load_2addr_b64 v[9:12], v22 offset0:16 offset1:24
	ds_load_2addr_b64 v[13:16], v22 offset0:32 offset1:40
	;; [unrolled: 1-line block ×3, first 2 shown]
	s_waitcnt lgkmcnt(3)
	s_clause 0x1
	scratch_store_b64 off, v[0:1], off offset:8
	scratch_store_b64 off, v[2:3], off offset:24
	s_waitcnt lgkmcnt(2)
	s_clause 0x1
	scratch_store_b64 off, v[9:10], off offset:40
	scratch_store_b64 off, v[11:12], off offset:56
	;; [unrolled: 4-line block ×4, first 2 shown]
	s_waitcnt_vscnt null, 0x0
	s_barrier
	buffer_gl0_inv
	s_clause 0x7
	scratch_load_b128 v[0:3], off, off offset:48
	scratch_load_b128 v[9:12], off, off offset:112
	;; [unrolled: 1-line block ×6, first 2 shown]
	scratch_load_b128 v[40:43], off, off
	scratch_load_b128 v[44:47], off, off offset:64
	s_waitcnt vmcnt(6)
	v_add_f64 v[4:5], v[0:1], -v[9:10]
	v_add_f64 v[29:30], v[2:3], -v[11:12]
	s_waitcnt vmcnt(4)
	v_add_f64 v[48:49], v[13:14], -v[17:18]
	v_add_f64 v[50:51], v[15:16], -v[19:20]
	v_add_f64 v[13:14], v[13:14], v[17:18]
	v_add_f64 v[15:16], v[15:16], v[19:20]
	;; [unrolled: 1-line block ×4, first 2 shown]
	s_waitcnt vmcnt(2)
	v_add_f64 v[9:10], v[21:22], -v[25:26]
	v_add_f64 v[11:12], v[23:24], -v[27:28]
	v_add_f64 v[21:22], v[21:22], v[25:26]
	v_add_f64 v[23:24], v[23:24], v[27:28]
	s_waitcnt vmcnt(0)
	v_add_f64 v[25:26], v[40:41], -v[44:45]
	v_add_f64 v[52:53], v[29:30], -v[4:5]
	v_add_f64 v[4:5], -v[29:30], -v[4:5]
	v_add_f64 v[17:18], v[48:49], v[50:51]
	v_add_f64 v[19:20], v[50:51], -v[48:49]
	v_add_f64 v[48:49], v[40:41], v[44:45]
	v_add_f64 v[50:51], v[42:43], v[46:47]
	v_add_f64 v[27:28], v[13:14], -v[0:1]
	v_add_f64 v[40:41], v[15:16], -v[2:3]
	;; [unrolled: 1-line block ×3, first 2 shown]
	v_fma_f64 v[44:45], v[9:10], 0, v[11:12]
	v_fma_f64 v[9:10], v[11:12], 0, -v[9:10]
	v_add_f64 v[13:14], v[13:14], v[0:1]
	v_add_f64 v[15:16], v[15:16], v[2:3]
	v_mul_f64 v[29:30], v[52:53], s[0:1]
	v_mul_f64 v[4:5], v[4:5], s[0:1]
	v_add_f64 v[52:53], v[48:49], v[21:22]
	v_add_f64 v[54:55], v[50:51], v[23:24]
	v_add_f64 v[21:22], v[48:49], -v[21:22]
	v_add_f64 v[23:24], v[50:51], -v[23:24]
	v_fma_f64 v[48:49], v[27:28], 0, v[40:41]
	v_fma_f64 v[27:28], v[40:41], 0, -v[27:28]
	v_add_f64 v[50:51], v[42:43], v[9:10]
	v_add_f64 v[9:10], v[42:43], -v[9:10]
	v_add_f64 v[40:41], v[25:26], v[44:45]
	v_add_f64 v[56:57], v[25:26], -v[44:45]
	v_fma_f64 v[11:12], v[17:18], s[0:1], -v[29:30]
	v_fma_f64 v[46:47], v[19:20], s[0:1], -v[4:5]
	v_fma_f64 v[4:5], v[19:20], s[0:1], v[4:5]
	v_fma_f64 v[29:30], v[17:18], s[0:1], v[29:30]
	v_add_f64 v[0:1], v[52:53], v[13:14]
	v_add_f64 v[2:3], v[54:55], v[15:16]
	;; [unrolled: 1-line block ×3, first 2 shown]
	v_fma_f64 v[60:61], v[46:47], 0, -v[11:12]
	v_fma_f64 v[58:59], v[11:12], 0, v[46:47]
	v_mov_b32_e32 v11, 0
	v_add_f64 v[12:13], v[52:53], -v[13:14]
	v_add_f64 v[14:15], v[54:55], -v[15:16]
	v_add_f64 v[16:17], v[21:22], v[48:49]
	v_add_f64 v[20:21], v[21:22], -v[48:49]
	v_add_f64 v[22:23], v[23:24], -v[27:28]
	v_add_f64 v[26:27], v[50:51], v[4:5]
	v_add_f64 v[42:43], v[50:51], -v[4:5]
	v_add_f64 v[24:25], v[40:41], v[29:30]
	;; [unrolled: 2-line block ×3, first 2 shown]
	v_add_f64 v[50:51], v[9:10], -v[60:61]
	v_cvt_f64_u32_e32 v[9:10], v39
	v_add_f64 v[44:45], v[56:57], v[58:59]
	v_add_f64 v[48:49], v[56:57], -v[58:59]
	s_clause 0x7
	scratch_store_b128 off, v[0:3], off
	scratch_store_b128 off, v[12:15], off offset:16
	scratch_store_b128 off, v[16:19], off offset:32
	scratch_store_b128 off, v[20:23], off offset:48
	scratch_store_b128 off, v[24:27], off offset:64
	scratch_store_b128 off, v[40:43], off offset:80
	scratch_store_b128 off, v[44:47], off offset:96
	scratch_store_b128 off, v[48:51], off offset:112
	s_branch .LBB0_12
.LBB0_11:                               ;   in Loop: Header=BB0_12 Depth=1
	s_or_b32 exec_lo, exec_lo, s0
	v_mul_f64 v[19:20], v[15:16], v[15:16]
	v_mul_f64 v[21:22], v[27:28], v[27:28]
	s_delay_alu instid0(VALU_DEP_3) | instskip(NEXT) | instid1(VALU_DEP_4)
	v_mul_f64 v[55:56], v[17:18], 0.5
	v_mul_f64 v[61:62], v[29:30], 0.5
	v_cmp_class_f64_e64 s0, v[13:14], 0x1f8
	v_and_b32_e32 v12, 1, v40
	v_lshlrev_b32_e32 v13, 30, v42
	s_delay_alu instid0(VALU_DEP_2) | instskip(NEXT) | instid1(VALU_DEP_2)
	v_cmp_eq_u32_e32 vcc_lo, 0, v12
	v_xor_b32_e32 v13, v13, v14
	s_delay_alu instid0(VALU_DEP_1)
	v_and_b32_e32 v13, 0x80000000, v13
	v_fma_f64 v[23:24], v[19:20], s[38:39], s[36:37]
	v_fma_f64 v[25:26], v[21:22], s[38:39], s[36:37]
	;; [unrolled: 1-line block ×3, first 2 shown]
	v_mul_f64 v[45:46], v[19:20], 0.5
	v_fma_f64 v[47:48], v[21:22], s[22:23], s[20:21]
	v_mul_f64 v[49:50], v[21:22], 0.5
	v_mul_f64 v[57:58], v[15:16], -v[19:20]
	v_mul_f64 v[63:64], v[27:28], -v[21:22]
	v_fma_f64 v[23:24], v[19:20], v[23:24], s[40:41]
	v_fma_f64 v[25:26], v[21:22], v[25:26], s[40:41]
	;; [unrolled: 1-line block ×3, first 2 shown]
	v_add_f64 v[51:52], -v[45:46], 1.0
	v_fma_f64 v[47:48], v[21:22], v[47:48], s[24:25]
	v_add_f64 v[53:54], -v[49:50], 1.0
	v_fma_f64 v[23:24], v[19:20], v[23:24], s[42:43]
	v_fma_f64 v[25:26], v[21:22], v[25:26], s[42:43]
	;; [unrolled: 1-line block ×3, first 2 shown]
	v_add_f64 v[59:60], -v[51:52], 1.0
	v_fma_f64 v[47:48], v[21:22], v[47:48], s[26:27]
	v_add_f64 v[65:66], -v[53:54], 1.0
	v_fma_f64 v[23:24], v[19:20], v[23:24], s[44:45]
	v_fma_f64 v[25:26], v[21:22], v[25:26], s[44:45]
	;; [unrolled: 1-line block ×3, first 2 shown]
	v_add_f64 v[45:46], v[59:60], -v[45:46]
	v_fma_f64 v[47:48], v[21:22], v[47:48], s[28:29]
	v_add_f64 v[49:50], v[65:66], -v[49:50]
	v_fma_f64 v[23:24], v[57:58], v[23:24], v[55:56]
	v_fma_f64 v[25:26], v[63:64], v[25:26], v[61:62]
	v_mul_f64 v[55:56], v[19:20], v[19:20]
	v_fma_f64 v[43:44], v[19:20], v[43:44], s[30:31]
	v_fma_f64 v[45:46], v[15:16], -v[17:18], v[45:46]
	v_fma_f64 v[17:18], v[19:20], v[23:24], -v[17:18]
	v_mul_f64 v[19:20], v[21:22], v[21:22]
	v_fma_f64 v[23:24], v[21:22], v[47:48], s[30:31]
	v_fma_f64 v[47:48], v[27:28], -v[29:30], v[49:50]
	v_fma_f64 v[21:22], v[21:22], v[25:26], -v[29:30]
	v_fma_f64 v[25:26], v[55:56], v[43:44], v[45:46]
	v_fma_f64 v[17:18], v[57:58], s[34:35], v[17:18]
	s_delay_alu instid0(VALU_DEP_4) | instskip(NEXT) | instid1(VALU_DEP_4)
	v_fma_f64 v[19:20], v[19:20], v[23:24], v[47:48]
	v_fma_f64 v[21:22], v[63:64], s[34:35], v[21:22]
	s_delay_alu instid0(VALU_DEP_4) | instskip(NEXT) | instid1(VALU_DEP_4)
	v_add_f64 v[23:24], v[51:52], v[25:26]
	v_add_f64 v[15:16], v[15:16], -v[17:18]
	s_delay_alu instid0(VALU_DEP_4) | instskip(NEXT) | instid1(VALU_DEP_4)
	v_add_f64 v[17:18], v[53:54], v[19:20]
	v_add_f64 v[19:20], v[27:28], -v[21:22]
	s_delay_alu instid0(VALU_DEP_3) | instskip(NEXT) | instid1(VALU_DEP_4)
	v_cndmask_b32_e32 v12, v15, v23, vcc_lo
	v_xor_b32_e32 v16, 0x80000000, v16
	v_and_b32_e32 v15, 1, v42
	s_delay_alu instid0(VALU_DEP_3) | instskip(NEXT) | instid1(VALU_DEP_3)
	v_cndmask_b32_e64 v12, 0, v12, s0
	v_cndmask_b32_e32 v16, v16, v24, vcc_lo
	s_delay_alu instid0(VALU_DEP_3) | instskip(NEXT) | instid1(VALU_DEP_1)
	v_cmp_eq_u32_e64 s1, 0, v15
	v_cndmask_b32_e64 v15, v18, v20, s1
	v_cndmask_b32_e64 v14, v17, v19, s1
	s_delay_alu instid0(VALU_DEP_2) | instskip(NEXT) | instid1(VALU_DEP_2)
	v_xor_b32_e32 v15, v15, v13
	v_cndmask_b32_e64 v13, 0, v14, s0
	s_delay_alu instid0(VALU_DEP_2) | instskip(SKIP_1) | instid1(VALU_DEP_1)
	v_cndmask_b32_e64 v14, 0x7ff80000, v15, s0
	s_waitcnt vmcnt(0)
	v_mul_f64 v[17:18], v[4:5], v[13:14]
	v_mul_f64 v[14:15], v[2:3], v[13:14]
	v_lshlrev_b32_e32 v13, 30, v40
	s_delay_alu instid0(VALU_DEP_1) | instskip(NEXT) | instid1(VALU_DEP_1)
	v_and_b32_e32 v13, 0x80000000, v13
	v_xor_b32_e32 v13, v16, v13
	s_delay_alu instid0(VALU_DEP_1) | instskip(NEXT) | instid1(VALU_DEP_1)
	v_cndmask_b32_e64 v13, 0x7ff80000, v13, s0
	v_fma_f64 v[2:3], v[2:3], v[12:13], -v[17:18]
	v_fma_f64 v[4:5], v[4:5], v[12:13], v[14:15]
	v_add_nc_u32_e64 v12, s33, 0
	s_add_i32 s33, s33, 16
	s_add_u32 s2, s2, 4
	s_addc_u32 s3, s3, 0
	s_cmpk_lg_i32 s33, 0x80
	scratch_store_b128 v12, v[2:5], off
	s_cbranch_scc0 .LBB0_20
.LBB0_12:                               ; =>This Inner Loop Header: Depth=1
	s_add_i32 s0, s33, 0
                                        ; implicit-def: $vgpr40
                                        ; implicit-def: $vgpr15_vgpr16
                                        ; implicit-def: $vgpr17_vgpr18
	scratch_load_b128 v[2:5], off, s0
	s_load_b32 s0, s[2:3], 0x0
	s_waitcnt lgkmcnt(0)
	v_cvt_f64_i32_e32 v[12:13], s0
	s_delay_alu instid0(VALU_DEP_1) | instskip(NEXT) | instid1(VALU_DEP_1)
	v_mul_f64 v[12:13], v[12:13], s[4:5]
	v_ldexp_f64 v[12:13], v[12:13], -6
	s_delay_alu instid0(VALU_DEP_1) | instskip(NEXT) | instid1(VALU_DEP_1)
	v_mul_f64 v[13:14], v[12:13], v[9:10]
	v_cmp_ngt_f64_e64 s1, 0x41d00000, |v[13:14]|
	v_trig_preop_f64 v[23:24], |v[13:14]|, 0
	v_trig_preop_f64 v[21:22], |v[13:14]|, 1
	v_ldexp_f64 v[25:26], |v[13:14]|, 0xffffff80
	v_trig_preop_f64 v[19:20], |v[13:14]|, 2
	v_and_b32_e32 v41, 0x7fffffff, v14
	s_and_saveexec_b32 s0, s1
	s_delay_alu instid0(SALU_CYCLE_1)
	s_xor_b32 s10, exec_lo, s0
	s_cbranch_execz .LBB0_14
; %bb.13:                               ;   in Loop: Header=BB0_12 Depth=1
	v_cmp_le_f64_e64 vcc_lo, 0x7b000000, |v[13:14]|
	s_mov_b32 s8, s6
	s_mov_b32 s13, s11
	s_delay_alu instid0(VALU_DEP_4) | instskip(SKIP_1) | instid1(VALU_DEP_1)
	v_cndmask_b32_e32 v16, v41, v26, vcc_lo
	v_cndmask_b32_e32 v15, v13, v25, vcc_lo
	v_mul_f64 v[17:18], v[23:24], v[15:16]
	v_mul_f64 v[27:28], v[21:22], v[15:16]
	s_delay_alu instid0(VALU_DEP_2) | instskip(NEXT) | instid1(VALU_DEP_2)
	v_fma_f64 v[29:30], v[23:24], v[15:16], -v[17:18]
	v_fma_f64 v[52:53], v[21:22], v[15:16], -v[27:28]
	s_delay_alu instid0(VALU_DEP_2) | instskip(NEXT) | instid1(VALU_DEP_1)
	v_add_f64 v[42:43], v[27:28], v[29:30]
	v_add_f64 v[44:45], v[42:43], -v[27:28]
	v_add_f64 v[48:49], v[17:18], v[42:43]
	s_delay_alu instid0(VALU_DEP_2) | instskip(SKIP_1) | instid1(VALU_DEP_3)
	v_add_f64 v[46:47], v[42:43], -v[44:45]
	v_add_f64 v[29:30], v[29:30], -v[44:45]
	v_ldexp_f64 v[44:45], v[48:49], -2
	v_add_f64 v[17:18], v[48:49], -v[17:18]
	s_delay_alu instid0(VALU_DEP_4) | instskip(NEXT) | instid1(VALU_DEP_3)
	v_add_f64 v[27:28], v[27:28], -v[46:47]
	v_cmp_neq_f64_e64 vcc_lo, 0x7ff00000, |v[44:45]|
	s_delay_alu instid0(VALU_DEP_3) | instskip(NEXT) | instid1(VALU_DEP_3)
	v_add_f64 v[17:18], v[42:43], -v[17:18]
	v_add_f64 v[27:28], v[29:30], v[27:28]
	v_fract_f64_e32 v[29:30], v[44:45]
	s_delay_alu instid0(VALU_DEP_1) | instskip(SKIP_1) | instid1(VALU_DEP_2)
	v_dual_cndmask_b32 v30, 0, v30 :: v_dual_cndmask_b32 v29, 0, v29
	v_mul_f64 v[50:51], v[19:20], v[15:16]
	v_ldexp_f64 v[29:30], v[29:30], 2
	s_delay_alu instid0(VALU_DEP_2) | instskip(SKIP_1) | instid1(VALU_DEP_2)
	v_add_f64 v[46:47], v[50:51], v[52:53]
	v_fma_f64 v[15:16], v[19:20], v[15:16], -v[50:51]
	v_add_f64 v[42:43], v[46:47], v[27:28]
	s_delay_alu instid0(VALU_DEP_1) | instskip(SKIP_1) | instid1(VALU_DEP_2)
	v_add_f64 v[44:45], v[17:18], v[42:43]
	v_add_f64 v[54:55], v[42:43], -v[46:47]
	v_add_f64 v[48:49], v[44:45], v[29:30]
	s_delay_alu instid0(VALU_DEP_2) | instskip(SKIP_2) | instid1(VALU_DEP_4)
	v_add_f64 v[60:61], v[42:43], -v[54:55]
	v_add_f64 v[27:28], v[27:28], -v[54:55]
	;; [unrolled: 1-line block ×3, first 2 shown]
	v_cmp_gt_f64_e32 vcc_lo, 0, v[48:49]
	v_add_f64 v[48:49], v[46:47], -v[50:51]
	s_delay_alu instid0(VALU_DEP_3) | instskip(SKIP_1) | instid1(VALU_DEP_3)
	v_add_f64 v[17:18], v[42:43], -v[17:18]
	v_cndmask_b32_e64 v12, 0, 0x40100000, vcc_lo
	v_add_f64 v[58:59], v[46:47], -v[48:49]
	v_add_f64 v[48:49], v[52:53], -v[48:49]
	;; [unrolled: 1-line block ×3, first 2 shown]
	s_delay_alu instid0(VALU_DEP_4) | instskip(NEXT) | instid1(VALU_DEP_4)
	v_add_f64 v[29:30], v[29:30], v[11:12]
	v_add_f64 v[52:53], v[50:51], -v[58:59]
	s_delay_alu instid0(VALU_DEP_3) | instskip(NEXT) | instid1(VALU_DEP_3)
	v_add_f64 v[27:28], v[27:28], v[46:47]
	v_add_f64 v[56:57], v[44:45], v[29:30]
	s_delay_alu instid0(VALU_DEP_3) | instskip(NEXT) | instid1(VALU_DEP_2)
	v_add_f64 v[48:49], v[48:49], v[52:53]
	v_cvt_i32_f64_e32 v12, v[56:57]
	s_delay_alu instid0(VALU_DEP_2) | instskip(NEXT) | instid1(VALU_DEP_2)
	v_add_f64 v[27:28], v[48:49], v[27:28]
	v_cvt_f64_i32_e32 v[54:55], v12
	s_delay_alu instid0(VALU_DEP_2) | instskip(NEXT) | instid1(VALU_DEP_2)
	v_add_f64 v[15:16], v[15:16], v[27:28]
	v_add_f64 v[29:30], v[29:30], -v[54:55]
	s_delay_alu instid0(VALU_DEP_2) | instskip(NEXT) | instid1(VALU_DEP_2)
	v_add_f64 v[15:16], v[17:18], v[15:16]
	v_add_f64 v[46:47], v[44:45], v[29:30]
	s_delay_alu instid0(VALU_DEP_1) | instskip(SKIP_1) | instid1(VALU_DEP_2)
	v_add_f64 v[27:28], v[46:47], -v[29:30]
	v_cmp_le_f64_e32 vcc_lo, 0.5, v[46:47]
	v_add_f64 v[17:18], v[44:45], -v[27:28]
	v_add_co_ci_u32_e64 v40, s0, 0, v12, vcc_lo
	v_cndmask_b32_e64 v12, 0, 0x3ff00000, vcc_lo
	s_delay_alu instid0(VALU_DEP_3) | instskip(NEXT) | instid1(VALU_DEP_2)
	v_add_f64 v[15:16], v[15:16], v[17:18]
	v_add_f64 v[17:18], v[46:47], -v[11:12]
	s_delay_alu instid0(VALU_DEP_1) | instskip(NEXT) | instid1(VALU_DEP_1)
	v_add_f64 v[27:28], v[17:18], v[15:16]
	v_mul_f64 v[29:30], v[27:28], s[8:9]
	v_add_f64 v[17:18], v[27:28], -v[17:18]
	s_delay_alu instid0(VALU_DEP_2) | instskip(NEXT) | instid1(VALU_DEP_2)
	v_fma_f64 v[42:43], v[27:28], s[8:9], -v[29:30]
	v_add_f64 v[15:16], v[15:16], -v[17:18]
	s_delay_alu instid0(VALU_DEP_2) | instskip(NEXT) | instid1(VALU_DEP_1)
	v_fma_f64 v[17:18], v[27:28], s[12:13], v[42:43]
	v_fma_f64 v[17:18], v[15:16], s[8:9], v[17:18]
	s_delay_alu instid0(VALU_DEP_1) | instskip(NEXT) | instid1(VALU_DEP_1)
	v_add_f64 v[15:16], v[29:30], v[17:18]
	v_add_f64 v[27:28], v[15:16], -v[29:30]
	s_delay_alu instid0(VALU_DEP_1)
	v_add_f64 v[17:18], v[17:18], -v[27:28]
	s_and_not1_saveexec_b32 s0, s10
	s_cbranch_execz .LBB0_16
	s_branch .LBB0_15
.LBB0_14:                               ;   in Loop: Header=BB0_12 Depth=1
	s_and_not1_saveexec_b32 s0, s10
	s_cbranch_execz .LBB0_16
.LBB0_15:                               ;   in Loop: Header=BB0_12 Depth=1
	v_mul_f64 v[15:16], |v[13:14]|, s[14:15]
	s_mov_b32 s10, s16
	s_delay_alu instid0(VALU_DEP_1) | instskip(NEXT) | instid1(VALU_DEP_1)
	v_rndne_f64_e32 v[27:28], v[15:16]
	v_fma_f64 v[15:16], v[27:28], s[6:7], |v[13:14]|
	v_mul_f64 v[17:18], v[27:28], s[16:17]
	v_cvt_i32_f64_e32 v40, v[27:28]
	s_delay_alu instid0(VALU_DEP_3) | instskip(NEXT) | instid1(VALU_DEP_3)
	v_fma_f64 v[42:43], v[27:28], s[16:17], v[15:16]
	v_add_f64 v[29:30], v[15:16], v[17:18]
	s_delay_alu instid0(VALU_DEP_1) | instskip(NEXT) | instid1(VALU_DEP_3)
	v_add_f64 v[15:16], v[15:16], -v[29:30]
	v_add_f64 v[29:30], v[29:30], -v[42:43]
	s_delay_alu instid0(VALU_DEP_2) | instskip(SKIP_1) | instid1(VALU_DEP_2)
	v_add_f64 v[15:16], v[15:16], v[17:18]
	v_fma_f64 v[17:18], v[27:28], s[10:11], v[17:18]
	v_add_f64 v[15:16], v[29:30], v[15:16]
	s_delay_alu instid0(VALU_DEP_1) | instskip(NEXT) | instid1(VALU_DEP_1)
	v_add_f64 v[15:16], v[15:16], -v[17:18]
	v_fma_f64 v[17:18], v[27:28], s[18:19], v[15:16]
	s_delay_alu instid0(VALU_DEP_1) | instskip(NEXT) | instid1(VALU_DEP_1)
	v_add_f64 v[15:16], v[42:43], v[17:18]
	v_add_f64 v[29:30], v[15:16], -v[42:43]
	s_delay_alu instid0(VALU_DEP_1)
	v_add_f64 v[17:18], v[17:18], -v[29:30]
.LBB0_16:                               ;   in Loop: Header=BB0_12 Depth=1
	s_or_b32 exec_lo, exec_lo, s0
                                        ; implicit-def: $vgpr42
                                        ; implicit-def: $vgpr27_vgpr28
                                        ; implicit-def: $vgpr29_vgpr30
	s_and_saveexec_b32 s0, s1
	s_delay_alu instid0(SALU_CYCLE_1)
	s_xor_b32 s1, exec_lo, s0
	s_cbranch_execz .LBB0_18
; %bb.17:                               ;   in Loop: Header=BB0_12 Depth=1
	v_cmp_le_f64_e64 vcc_lo, 0x7b000000, |v[13:14]|
	s_mov_b32 s8, s6
	s_mov_b32 s13, s11
	s_delay_alu instid0(VALU_DEP_4) | instskip(SKIP_1) | instid1(VALU_DEP_1)
	v_cndmask_b32_e32 v26, v41, v26, vcc_lo
	v_cndmask_b32_e32 v25, v13, v25, vcc_lo
	v_mul_f64 v[27:28], v[23:24], v[25:26]
	v_mul_f64 v[29:30], v[21:22], v[25:26]
	s_delay_alu instid0(VALU_DEP_2) | instskip(NEXT) | instid1(VALU_DEP_2)
	v_fma_f64 v[23:24], v[23:24], v[25:26], -v[27:28]
	v_fma_f64 v[21:22], v[21:22], v[25:26], -v[29:30]
	s_delay_alu instid0(VALU_DEP_2) | instskip(NEXT) | instid1(VALU_DEP_1)
	v_add_f64 v[41:42], v[29:30], v[23:24]
	v_add_f64 v[43:44], v[41:42], -v[29:30]
	v_add_f64 v[47:48], v[27:28], v[41:42]
	s_delay_alu instid0(VALU_DEP_2) | instskip(SKIP_1) | instid1(VALU_DEP_3)
	v_add_f64 v[45:46], v[41:42], -v[43:44]
	v_add_f64 v[23:24], v[23:24], -v[43:44]
	v_ldexp_f64 v[43:44], v[47:48], -2
	v_add_f64 v[27:28], v[47:48], -v[27:28]
	s_delay_alu instid0(VALU_DEP_4) | instskip(NEXT) | instid1(VALU_DEP_3)
	v_add_f64 v[29:30], v[29:30], -v[45:46]
	v_cmp_neq_f64_e64 vcc_lo, 0x7ff00000, |v[43:44]|
	s_delay_alu instid0(VALU_DEP_3) | instskip(NEXT) | instid1(VALU_DEP_3)
	v_add_f64 v[27:28], v[41:42], -v[27:28]
	v_add_f64 v[23:24], v[23:24], v[29:30]
	v_fract_f64_e32 v[29:30], v[43:44]
	s_delay_alu instid0(VALU_DEP_1) | instskip(SKIP_1) | instid1(VALU_DEP_2)
	v_dual_cndmask_b32 v30, 0, v30 :: v_dual_cndmask_b32 v29, 0, v29
	v_mul_f64 v[49:50], v[19:20], v[25:26]
	v_ldexp_f64 v[29:30], v[29:30], 2
	s_delay_alu instid0(VALU_DEP_2) | instskip(SKIP_1) | instid1(VALU_DEP_2)
	v_add_f64 v[45:46], v[49:50], v[21:22]
	v_fma_f64 v[19:20], v[19:20], v[25:26], -v[49:50]
	v_add_f64 v[41:42], v[45:46], v[23:24]
	s_delay_alu instid0(VALU_DEP_1) | instskip(SKIP_1) | instid1(VALU_DEP_2)
	v_add_f64 v[43:44], v[27:28], v[41:42]
	v_add_f64 v[51:52], v[41:42], -v[45:46]
	v_add_f64 v[47:48], v[43:44], v[29:30]
	s_delay_alu instid0(VALU_DEP_2) | instskip(SKIP_2) | instid1(VALU_DEP_4)
	v_add_f64 v[57:58], v[41:42], -v[51:52]
	v_add_f64 v[23:24], v[23:24], -v[51:52]
	;; [unrolled: 1-line block ×3, first 2 shown]
	v_cmp_gt_f64_e32 vcc_lo, 0, v[47:48]
	v_add_f64 v[47:48], v[45:46], -v[49:50]
	s_delay_alu instid0(VALU_DEP_3) | instskip(SKIP_1) | instid1(VALU_DEP_3)
	v_add_f64 v[25:26], v[41:42], -v[25:26]
	v_cndmask_b32_e64 v12, 0, 0x40100000, vcc_lo
	v_add_f64 v[55:56], v[45:46], -v[47:48]
	v_add_f64 v[21:22], v[21:22], -v[47:48]
	;; [unrolled: 1-line block ×3, first 2 shown]
	s_delay_alu instid0(VALU_DEP_4) | instskip(NEXT) | instid1(VALU_DEP_4)
	v_add_f64 v[29:30], v[29:30], v[11:12]
	v_add_f64 v[47:48], v[49:50], -v[55:56]
	s_delay_alu instid0(VALU_DEP_3) | instskip(NEXT) | instid1(VALU_DEP_3)
	v_add_f64 v[23:24], v[23:24], v[45:46]
	v_add_f64 v[53:54], v[43:44], v[29:30]
	s_delay_alu instid0(VALU_DEP_3) | instskip(NEXT) | instid1(VALU_DEP_2)
	v_add_f64 v[21:22], v[21:22], v[47:48]
	v_cvt_i32_f64_e32 v12, v[53:54]
	s_delay_alu instid0(VALU_DEP_2) | instskip(NEXT) | instid1(VALU_DEP_2)
	v_add_f64 v[21:22], v[21:22], v[23:24]
	v_cvt_f64_i32_e32 v[51:52], v12
	s_delay_alu instid0(VALU_DEP_2) | instskip(NEXT) | instid1(VALU_DEP_2)
	v_add_f64 v[19:20], v[19:20], v[21:22]
	v_add_f64 v[29:30], v[29:30], -v[51:52]
	s_delay_alu instid0(VALU_DEP_2) | instskip(NEXT) | instid1(VALU_DEP_2)
	v_add_f64 v[19:20], v[25:26], v[19:20]
	v_add_f64 v[23:24], v[43:44], v[29:30]
	s_delay_alu instid0(VALU_DEP_1) | instskip(SKIP_1) | instid1(VALU_DEP_2)
	v_add_f64 v[21:22], v[23:24], -v[29:30]
	v_cmp_le_f64_e32 vcc_lo, 0.5, v[23:24]
	v_add_f64 v[21:22], v[43:44], -v[21:22]
	v_add_co_ci_u32_e64 v42, s0, 0, v12, vcc_lo
	v_cndmask_b32_e64 v12, 0, 0x3ff00000, vcc_lo
	s_delay_alu instid0(VALU_DEP_3) | instskip(NEXT) | instid1(VALU_DEP_2)
	v_add_f64 v[19:20], v[19:20], v[21:22]
	v_add_f64 v[21:22], v[23:24], -v[11:12]
	s_delay_alu instid0(VALU_DEP_1) | instskip(NEXT) | instid1(VALU_DEP_1)
	v_add_f64 v[23:24], v[21:22], v[19:20]
	v_mul_f64 v[25:26], v[23:24], s[8:9]
	v_add_f64 v[21:22], v[23:24], -v[21:22]
	s_delay_alu instid0(VALU_DEP_2) | instskip(NEXT) | instid1(VALU_DEP_2)
	v_fma_f64 v[27:28], v[23:24], s[8:9], -v[25:26]
	v_add_f64 v[19:20], v[19:20], -v[21:22]
	s_delay_alu instid0(VALU_DEP_2) | instskip(NEXT) | instid1(VALU_DEP_1)
	v_fma_f64 v[21:22], v[23:24], s[12:13], v[27:28]
	v_fma_f64 v[19:20], v[19:20], s[8:9], v[21:22]
	s_delay_alu instid0(VALU_DEP_1) | instskip(NEXT) | instid1(VALU_DEP_1)
	v_add_f64 v[27:28], v[25:26], v[19:20]
	v_add_f64 v[21:22], v[27:28], -v[25:26]
	s_delay_alu instid0(VALU_DEP_1)
	v_add_f64 v[29:30], v[19:20], -v[21:22]
	s_and_not1_saveexec_b32 s0, s1
	s_cbranch_execz .LBB0_11
	s_branch .LBB0_19
.LBB0_18:                               ;   in Loop: Header=BB0_12 Depth=1
	s_and_not1_saveexec_b32 s0, s1
	s_cbranch_execz .LBB0_11
.LBB0_19:                               ;   in Loop: Header=BB0_12 Depth=1
	v_mul_f64 v[19:20], |v[13:14]|, s[14:15]
	s_mov_b32 s10, s16
	s_delay_alu instid0(VALU_DEP_1) | instskip(NEXT) | instid1(VALU_DEP_1)
	v_rndne_f64_e32 v[19:20], v[19:20]
	v_fma_f64 v[21:22], v[19:20], s[6:7], |v[13:14]|
	v_mul_f64 v[23:24], v[19:20], s[16:17]
	v_cvt_i32_f64_e32 v42, v[19:20]
	s_delay_alu instid0(VALU_DEP_3) | instskip(NEXT) | instid1(VALU_DEP_3)
	v_fma_f64 v[29:30], v[19:20], s[16:17], v[21:22]
	v_add_f64 v[25:26], v[21:22], v[23:24]
	s_delay_alu instid0(VALU_DEP_1) | instskip(NEXT) | instid1(VALU_DEP_3)
	v_add_f64 v[21:22], v[21:22], -v[25:26]
	v_add_f64 v[25:26], v[25:26], -v[29:30]
	s_delay_alu instid0(VALU_DEP_2) | instskip(SKIP_1) | instid1(VALU_DEP_2)
	v_add_f64 v[21:22], v[21:22], v[23:24]
	v_fma_f64 v[23:24], v[19:20], s[10:11], v[23:24]
	v_add_f64 v[21:22], v[25:26], v[21:22]
	s_delay_alu instid0(VALU_DEP_1) | instskip(NEXT) | instid1(VALU_DEP_1)
	v_add_f64 v[21:22], v[21:22], -v[23:24]
	v_fma_f64 v[21:22], v[19:20], s[18:19], v[21:22]
	s_delay_alu instid0(VALU_DEP_1) | instskip(NEXT) | instid1(VALU_DEP_1)
	v_add_f64 v[27:28], v[29:30], v[21:22]
	v_add_f64 v[23:24], v[27:28], -v[29:30]
	s_delay_alu instid0(VALU_DEP_1)
	v_add_f64 v[29:30], v[21:22], -v[23:24]
	s_branch .LBB0_11
.LBB0_20:
	s_clause 0x6
	scratch_load_b64 v[2:3], off, off offset:64
	scratch_load_b64 v[4:5], off, off offset:48
	;; [unrolled: 1-line block ×7, first 2 shown]
	v_mul_u32_u24_e32 v19, 0x48, v39
	v_add_nc_u32_e32 v21, 0x800, v6
	s_mov_b32 s0, 0x667f3bcd
	s_mov_b32 s1, 0x3fe6a09e
	s_waitcnt vmcnt(6)
	ds_store_2addr_b64 v6, v[0:1], v[2:3] offset1:72
	s_waitcnt vmcnt(1)
	ds_store_2addr_b64 v6, v[9:10], v[15:16] offset0:144 offset1:216
	s_waitcnt vmcnt(0)
	ds_store_2addr_b64 v21, v[11:12], v[17:18] offset0:32 offset1:104
	ds_store_2addr_b64 v21, v[4:5], v[13:14] offset0:176 offset1:248
	v_or_b32_e32 v19, v19, v38
	s_waitcnt lgkmcnt(0)
	s_waitcnt_vscnt null, 0x0
	s_barrier
	buffer_gl0_inv
	v_lshlrev_b32_e32 v22, 3, v19
	ds_load_2addr_b64 v[0:3], v22 offset1:8
	ds_load_2addr_b64 v[9:12], v22 offset0:16 offset1:24
	ds_load_2addr_b64 v[13:16], v22 offset0:32 offset1:40
	ds_load_2addr_b64 v[17:20], v22 offset0:48 offset1:56
	s_waitcnt lgkmcnt(3)
	s_clause 0x1
	scratch_store_b64 off, v[0:1], off
	scratch_store_b64 off, v[2:3], off offset:16
	s_waitcnt lgkmcnt(2)
	s_clause 0x1
	scratch_store_b64 off, v[9:10], off offset:32
	scratch_store_b64 off, v[11:12], off offset:48
	s_waitcnt lgkmcnt(1)
	s_clause 0x1
	scratch_store_b64 off, v[13:14], off offset:64
	;; [unrolled: 4-line block ×3, first 2 shown]
	scratch_store_b64 off, v[19:20], off offset:112
	s_waitcnt_vscnt null, 0x0
	s_barrier
	buffer_gl0_inv
	s_clause 0x7
	scratch_load_b64 v[0:1], off, off offset:8
	scratch_load_b64 v[2:3], off, off offset:72
	;; [unrolled: 1-line block ×8, first 2 shown]
	s_waitcnt vmcnt(6)
	ds_store_2addr_b64 v6, v[0:1], v[2:3] offset1:72
	s_waitcnt vmcnt(1)
	ds_store_2addr_b64 v6, v[9:10], v[15:16] offset0:144 offset1:216
	s_waitcnt vmcnt(0)
	ds_store_2addr_b64 v21, v[11:12], v[17:18] offset0:32 offset1:104
	ds_store_2addr_b64 v21, v[4:5], v[13:14] offset0:176 offset1:248
	s_waitcnt lgkmcnt(0)
	s_barrier
	buffer_gl0_inv
	ds_load_2addr_b64 v[0:3], v22 offset0:16 offset1:24
	ds_load_2addr_b64 v[9:12], v22 offset0:48 offset1:56
	s_waitcnt lgkmcnt(1)
	scratch_store_b64 off, v[2:3], off offset:56
	s_waitcnt lgkmcnt(0)
	scratch_store_b64 off, v[11:12], off offset:120
	s_clause 0x1
	scratch_load_b128 v[2:5], off, off offset:48
	scratch_load_b128 v[11:14], off, off offset:112
	ds_load_2addr_b64 v[15:18], v22 offset1:8
	ds_load_2addr_b64 v[19:22], v22 offset0:32 offset1:40
	s_waitcnt lgkmcnt(1)
	scratch_store_b64 off, v[17:18], off offset:24
	s_waitcnt lgkmcnt(0)
	scratch_store_b64 off, v[21:22], off offset:88
	s_clause 0x1
	scratch_load_b128 v[21:24], off, off offset:16
	scratch_load_b128 v[25:28], off, off offset:80
	s_clause 0x1
	scratch_store_b64 off, v[0:1], off offset:40
	scratch_store_b64 off, v[9:10], off offset:104
	s_clause 0x1
	scratch_load_b128 v[38:41], off, off offset:32
	scratch_load_b128 v[42:45], off, off offset:96
	s_clause 0x1
	scratch_store_b64 off, v[15:16], off offset:8
	scratch_store_b64 off, v[19:20], off offset:72
	s_clause 0x1
	scratch_load_b128 v[15:18], off, off
	scratch_load_b128 v[46:49], off, off offset:64
	s_waitcnt vmcnt(6)
	v_add_f64 v[0:1], v[2:3], -v[11:12]
	v_add_f64 v[9:10], v[4:5], -v[13:14]
	v_add_f64 v[2:3], v[2:3], v[11:12]
	v_add_f64 v[4:5], v[4:5], v[13:14]
	s_waitcnt vmcnt(4)
	v_add_f64 v[19:20], v[21:22], -v[25:26]
	v_add_f64 v[29:30], v[23:24], -v[27:28]
	s_waitcnt vmcnt(2)
	v_add_f64 v[11:12], v[38:39], -v[42:43]
	v_add_f64 v[13:14], v[40:41], -v[44:45]
	v_add_f64 v[38:39], v[38:39], v[42:43]
	v_add_f64 v[40:41], v[40:41], v[44:45]
	v_add_f64 v[50:51], v[9:10], -v[0:1]
	v_add_f64 v[0:1], -v[9:10], -v[0:1]
	v_add_f64 v[9:10], v[21:22], v[25:26]
	v_add_f64 v[21:22], v[23:24], v[27:28]
	s_waitcnt vmcnt(0)
	v_add_f64 v[27:28], v[15:16], v[46:47]
	v_add_f64 v[15:16], v[15:16], -v[46:47]
	v_add_f64 v[23:24], v[19:20], v[29:30]
	v_add_f64 v[19:20], v[29:30], -v[19:20]
	;; [unrolled: 2-line block ×3, first 2 shown]
	v_fma_f64 v[46:47], v[11:12], 0, v[13:14]
	v_fma_f64 v[11:12], v[13:14], 0, -v[11:12]
	v_mul_f64 v[25:26], v[50:51], s[0:1]
	v_mul_f64 v[0:1], v[0:1], s[0:1]
	v_add_f64 v[42:43], v[9:10], -v[2:3]
	v_add_f64 v[44:45], v[21:22], -v[4:5]
	v_add_f64 v[50:51], v[27:28], v[38:39]
	v_add_f64 v[54:55], v[9:10], v[2:3]
	;; [unrolled: 1-line block ×3, first 2 shown]
	v_add_f64 v[27:28], v[27:28], -v[38:39]
	v_add_f64 v[52:53], v[29:30], v[40:41]
	v_add_f64 v[29:30], v[29:30], -v[40:41]
	v_add_f64 v[40:41], v[15:16], v[46:47]
	v_fma_f64 v[13:14], v[23:24], s[0:1], -v[25:26]
	v_fma_f64 v[48:49], v[19:20], s[0:1], -v[0:1]
	v_fma_f64 v[23:24], v[23:24], s[0:1], v[25:26]
	v_fma_f64 v[21:22], v[42:43], 0, v[44:45]
	v_fma_f64 v[38:39], v[44:45], 0, -v[42:43]
	v_add_f64 v[42:43], v[17:18], v[11:12]
	v_fma_f64 v[25:26], v[19:20], s[0:1], v[0:1]
	v_add_f64 v[44:45], v[15:16], -v[46:47]
	v_add_f64 v[46:47], v[17:18], -v[11:12]
	;; [unrolled: 1-line block ×4, first 2 shown]
	v_fma_f64 v[56:57], v[13:14], 0, v[48:49]
	v_fma_f64 v[48:49], v[48:49], 0, -v[13:14]
	v_add_f64 v[9:10], v[27:28], v[21:22]
	v_add_f64 v[11:12], v[29:30], v[38:39]
	v_add_f64 v[13:14], v[27:28], -v[21:22]
	v_add_f64 v[15:16], v[29:30], -v[38:39]
	v_add_f64 v[17:18], v[40:41], v[23:24]
	v_add_f64 v[19:20], v[42:43], v[25:26]
	v_add_f64 v[21:22], v[40:41], -v[23:24]
	v_add_f64 v[23:24], v[42:43], -v[25:26]
	scratch_store_b128 off, v[0:3], off offset:16
	scratch_load_b128 v[0:3], v34, off
	s_clause 0x1
	scratch_store_b128 off, v[9:12], off offset:32
	scratch_store_b128 off, v[13:16], off offset:48
	v_add_f64 v[25:26], v[44:45], v[56:57]
	v_add_f64 v[27:28], v[46:47], v[48:49]
	v_add_f64 v[38:39], v[44:45], -v[56:57]
	v_add_f64 v[40:41], v[46:47], -v[48:49]
	s_clause 0x1
	scratch_load_b128 v[9:12], v33, off
	scratch_load_b128 v[13:16], v32, off
	s_clause 0x1
	scratch_store_b128 off, v[17:20], off offset:64
	scratch_store_b128 off, v[21:24], off offset:80
	s_clause 0x1
	scratch_load_b128 v[17:20], v31, off
	scratch_load_b128 v[21:24], v37, off
	v_add_f64 v[33:34], v[50:51], v[54:55]
	scratch_store_b128 off, v[25:28], off offset:96
	scratch_load_b128 v[25:28], v36, off
	scratch_store_b128 off, v[38:41], off offset:112
	scratch_load_b128 v[29:32], v35, off
	v_add_f64 v[35:36], v[52:53], v[4:5]
	v_add_co_u32 v4, vcc_lo, v7, 0x1400
	v_add_co_ci_u32_e32 v5, vcc_lo, 0, v8, vcc_lo
	scratch_store_b128 off, v[33:36], off
	global_store_b128 v[7:8], v[33:36], off
	s_waitcnt vmcnt(3)
	s_clause 0x1
	global_store_b128 v[4:5], v[17:20], off offset:-4096
	global_store_b128 v[4:5], v[0:3], off offset:-1024
	s_waitcnt vmcnt(2)
	s_clause 0x1
	global_store_b128 v[4:5], v[21:24], off
	global_store_b128 v[4:5], v[9:12], off offset:-3072
	s_waitcnt vmcnt(1)
	s_clause 0x1
	global_store_b128 v[4:5], v[25:28], off offset:-2048
	global_store_b128 v[4:5], v[13:16], off offset:1024
	s_waitcnt vmcnt(0)
	global_store_b128 v[4:5], v[29:32], off offset:2048
	s_endpgm
	.section	.rodata,"a",@progbits
	.p2align	6, 0x0
	.amdhsa_kernel _Z9fft1D_512P15HIP_vector_typeIdLj2EE
		.amdhsa_group_segment_fixed_size 4608
		.amdhsa_private_segment_fixed_size 144
		.amdhsa_kernarg_size 8
		.amdhsa_user_sgpr_count 15
		.amdhsa_user_sgpr_dispatch_ptr 0
		.amdhsa_user_sgpr_queue_ptr 0
		.amdhsa_user_sgpr_kernarg_segment_ptr 1
		.amdhsa_user_sgpr_dispatch_id 0
		.amdhsa_user_sgpr_private_segment_size 0
		.amdhsa_wavefront_size32 1
		.amdhsa_uses_dynamic_stack 0
		.amdhsa_enable_private_segment 1
		.amdhsa_system_sgpr_workgroup_id_x 1
		.amdhsa_system_sgpr_workgroup_id_y 0
		.amdhsa_system_sgpr_workgroup_id_z 0
		.amdhsa_system_sgpr_workgroup_info 0
		.amdhsa_system_vgpr_workitem_id 0
		.amdhsa_next_free_vgpr 67
		.amdhsa_next_free_sgpr 46
		.amdhsa_reserve_vcc 1
		.amdhsa_float_round_mode_32 0
		.amdhsa_float_round_mode_16_64 0
		.amdhsa_float_denorm_mode_32 3
		.amdhsa_float_denorm_mode_16_64 3
		.amdhsa_dx10_clamp 1
		.amdhsa_ieee_mode 1
		.amdhsa_fp16_overflow 0
		.amdhsa_workgroup_processor_mode 1
		.amdhsa_memory_ordered 1
		.amdhsa_forward_progress 0
		.amdhsa_shared_vgpr_count 0
		.amdhsa_exception_fp_ieee_invalid_op 0
		.amdhsa_exception_fp_denorm_src 0
		.amdhsa_exception_fp_ieee_div_zero 0
		.amdhsa_exception_fp_ieee_overflow 0
		.amdhsa_exception_fp_ieee_underflow 0
		.amdhsa_exception_fp_ieee_inexact 0
		.amdhsa_exception_int_div_zero 0
	.end_amdhsa_kernel
	.text
.Lfunc_end0:
	.size	_Z9fft1D_512P15HIP_vector_typeIdLj2EE, .Lfunc_end0-_Z9fft1D_512P15HIP_vector_typeIdLj2EE
                                        ; -- End function
	.section	.AMDGPU.csdata,"",@progbits
; Kernel info:
; codeLenInByte = 8884
; NumSgprs: 48
; NumVgprs: 67
; ScratchSize: 144
; MemoryBound: 0
; FloatMode: 240
; IeeeMode: 1
; LDSByteSize: 4608 bytes/workgroup (compile time only)
; SGPRBlocks: 5
; VGPRBlocks: 8
; NumSGPRsForWavesPerEU: 48
; NumVGPRsForWavesPerEU: 67
; Occupancy: 16
; WaveLimiterHint : 1
; COMPUTE_PGM_RSRC2:SCRATCH_EN: 1
; COMPUTE_PGM_RSRC2:USER_SGPR: 15
; COMPUTE_PGM_RSRC2:TRAP_HANDLER: 0
; COMPUTE_PGM_RSRC2:TGID_X_EN: 1
; COMPUTE_PGM_RSRC2:TGID_Y_EN: 0
; COMPUTE_PGM_RSRC2:TGID_Z_EN: 0
; COMPUTE_PGM_RSRC2:TIDIG_COMP_CNT: 0
	.text
	.protected	_Z10ifft1D_512P15HIP_vector_typeIdLj2EE ; -- Begin function _Z10ifft1D_512P15HIP_vector_typeIdLj2EE
	.globl	_Z10ifft1D_512P15HIP_vector_typeIdLj2EE
	.p2align	8
	.type	_Z10ifft1D_512P15HIP_vector_typeIdLj2EE,@function
_Z10ifft1D_512P15HIP_vector_typeIdLj2EE: ; @_Z10ifft1D_512P15HIP_vector_typeIdLj2EE
; %bb.0:
	s_load_b64 s[0:1], s[0:1], 0x0
	v_lshl_add_u32 v1, s15, 9, v0
	s_movk_i32 s8, 0x70
	s_mov_b32 s4, 0x54442d18
	s_mov_b32 s6, 0x54442d18
	;; [unrolled: 1-line block ×3, first 2 shown]
	v_ashrrev_i32_e32 v2, 31, v1
	s_mov_b32 s16, 0x33145c00
	s_mov_b32 s18, 0x252049c0
	;; [unrolled: 1-line block ×4, first 2 shown]
	v_lshlrev_b64 v[1:2], 4, v[1:2]
	s_mov_b32 s24, 0xa17f65f6
	s_mov_b32 s26, 0x19f4ec90
	;; [unrolled: 1-line block ×8, first 2 shown]
	s_waitcnt lgkmcnt(0)
	v_add_co_u32 v7, vcc_lo, s0, v1
	v_add_co_ci_u32_e32 v8, vcc_lo, s1, v2, vcc_lo
	s_mov_b32 s0, 0x667f3bcd
	s_delay_alu instid0(VALU_DEP_2) | instskip(NEXT) | instid1(VALU_DEP_2)
	v_add_co_u32 v5, vcc_lo, 0x1000, v7
	v_add_co_ci_u32_e32 v6, vcc_lo, 0, v8, vcc_lo
	s_mov_b32 s1, 0x3fe6a09e
	s_mov_b32 s42, 0x11110bb3
	s_clause 0x7
	global_load_b128 v[1:4], v[7:8], off offset:3072
	global_load_b128 v[9:12], v[5:6], off offset:3072
	;; [unrolled: 1-line block ×6, first 2 shown]
	global_load_b128 v[29:32], v[7:8], off
	global_load_b128 v[33:36], v[5:6], off
	s_mov_b32 s33, 16
	s_mov_b32 s5, 0x401921fb
	;; [unrolled: 1-line block ×22, first 2 shown]
	s_getpc_b64 s[2:3]
	s_add_u32 s2, s2, __const._Z10ifft1D_512P15HIP_vector_typeIdLj2EE.reversed@rel32@lo+8
	s_addc_u32 s3, s3, __const._Z10ifft1D_512P15HIP_vector_typeIdLj2EE.reversed@rel32@hi+16
	s_waitcnt vmcnt(6)
	v_add_f64 v[5:6], v[1:2], -v[9:10]
	v_add_f64 v[37:38], v[3:4], -v[11:12]
	s_waitcnt vmcnt(4)
	v_add_f64 v[39:40], v[13:14], -v[17:18]
	v_add_f64 v[41:42], v[15:16], -v[19:20]
	v_add_f64 v[13:14], v[13:14], v[17:18]
	v_add_f64 v[15:16], v[15:16], v[19:20]
	;; [unrolled: 1-line block ×4, first 2 shown]
	s_waitcnt vmcnt(2)
	v_add_f64 v[9:10], v[21:22], -v[25:26]
	v_add_f64 v[11:12], v[23:24], -v[27:28]
	v_add_f64 v[21:22], v[21:22], v[25:26]
	v_add_f64 v[23:24], v[23:24], v[27:28]
	s_waitcnt vmcnt(0)
	v_add_f64 v[25:26], v[29:30], -v[33:34]
	v_add_f64 v[43:44], -v[5:6], -v[37:38]
	v_add_f64 v[5:6], v[5:6], -v[37:38]
	v_add_f64 v[17:18], v[39:40], -v[41:42]
	v_add_f64 v[19:20], v[39:40], v[41:42]
	v_add_f64 v[39:40], v[29:30], v[33:34]
	;; [unrolled: 1-line block ×3, first 2 shown]
	v_add_f64 v[27:28], v[13:14], -v[1:2]
	v_add_f64 v[29:30], v[15:16], -v[3:4]
	;; [unrolled: 1-line block ×3, first 2 shown]
	v_fma_f64 v[33:34], v[9:10], 0, -v[11:12]
	v_fma_f64 v[9:10], v[11:12], 0, v[9:10]
	v_add_f64 v[13:14], v[13:14], v[1:2]
	v_add_f64 v[15:16], v[15:16], v[3:4]
	v_mul_f64 v[37:38], v[43:44], s[0:1]
	v_mul_f64 v[5:6], v[5:6], s[0:1]
	v_add_f64 v[43:44], v[39:40], v[21:22]
	v_add_f64 v[45:46], v[41:42], v[23:24]
	v_add_f64 v[21:22], v[39:40], -v[21:22]
	v_add_f64 v[23:24], v[41:42], -v[23:24]
	v_fma_f64 v[39:40], v[27:28], 0, -v[29:30]
	v_fma_f64 v[27:28], v[29:30], 0, v[27:28]
	v_add_f64 v[29:30], v[25:26], v[33:34]
	v_add_f64 v[41:42], v[31:32], v[9:10]
	v_add_f64 v[47:48], v[25:26], -v[33:34]
	v_add_f64 v[49:50], v[31:32], -v[9:10]
	v_cvt_f64_u32_e32 v[9:10], v0
	v_add_nc_u32_e64 v34, 0, 16
	v_add_nc_u32_e64 v33, 0, 32
	;; [unrolled: 1-line block ×4, first 2 shown]
	v_fma_f64 v[11:12], v[17:18], s[0:1], -v[37:38]
	v_fma_f64 v[35:36], v[19:20], s[0:1], -v[5:6]
	v_fma_f64 v[37:38], v[17:18], s[0:1], v[37:38]
	v_fma_f64 v[5:6], v[19:20], s[0:1], v[5:6]
	v_add_f64 v[1:2], v[43:44], v[13:14]
	v_add_f64 v[3:4], v[45:46], v[15:16]
	s_movk_i32 s0, 0x50
	s_movk_i32 s1, 0x60
	v_add_f64 v[18:19], v[23:24], v[27:28]
	v_fma_f64 v[51:52], v[11:12], 0, -v[35:36]
	v_fma_f64 v[35:36], v[35:36], 0, v[11:12]
	v_add_f64 v[12:13], v[43:44], -v[13:14]
	v_add_f64 v[14:15], v[45:46], -v[15:16]
	v_add_f64 v[16:17], v[21:22], v[39:40]
	v_add_f64 v[20:21], v[21:22], -v[39:40]
	v_add_f64 v[22:23], v[23:24], -v[27:28]
	v_add_f64 v[24:25], v[29:30], v[37:38]
	v_add_f64 v[26:27], v[41:42], v[5:6]
	v_add_f64 v[38:39], v[29:30], -v[37:38]
	v_add_f64 v[40:41], v[41:42], -v[5:6]
	v_mov_b32_e32 v11, 0
	v_add_nc_u32_e64 v37, s0, 0
	v_add_f64 v[42:43], v[47:48], v[51:52]
	v_add_f64 v[44:45], v[49:50], v[35:36]
	v_add_f64 v[46:47], v[47:48], -v[51:52]
	v_add_f64 v[48:49], v[49:50], -v[35:36]
	v_add_nc_u32_e64 v36, s1, 0
	v_add_nc_u32_e64 v35, s8, 0
	s_clause 0x7
	scratch_store_b128 off, v[1:4], off
	scratch_store_b128 off, v[12:15], off offset:16
	scratch_store_b128 off, v[16:19], off offset:32
	;; [unrolled: 1-line block ×7, first 2 shown]
	s_branch .LBB1_2
.LBB1_1:                                ;   in Loop: Header=BB1_2 Depth=1
	s_or_b32 exec_lo, exec_lo, s0
	v_mul_f64 v[19:20], v[15:16], v[15:16]
	v_mul_f64 v[21:22], v[27:28], v[27:28]
	s_delay_alu instid0(VALU_DEP_3) | instskip(NEXT) | instid1(VALU_DEP_4)
	v_mul_f64 v[53:54], v[17:18], 0.5
	v_mul_f64 v[59:60], v[29:30], 0.5
	v_cmp_class_f64_e64 s0, v[13:14], 0x1f8
	v_and_b32_e32 v12, 1, v38
	v_lshlrev_b32_e32 v13, 30, v40
	s_delay_alu instid0(VALU_DEP_2) | instskip(NEXT) | instid1(VALU_DEP_2)
	v_cmp_eq_u32_e32 vcc_lo, 0, v12
	v_xor_b32_e32 v13, v13, v14
	v_fma_f64 v[23:24], v[19:20], s[36:37], s[34:35]
	v_fma_f64 v[25:26], v[21:22], s[36:37], s[34:35]
	;; [unrolled: 1-line block ×3, first 2 shown]
	v_mul_f64 v[43:44], v[19:20], 0.5
	v_fma_f64 v[45:46], v[21:22], s[22:23], s[20:21]
	v_mul_f64 v[47:48], v[21:22], 0.5
	v_mul_f64 v[55:56], v[15:16], -v[19:20]
	v_mul_f64 v[61:62], v[27:28], -v[21:22]
	v_fma_f64 v[23:24], v[19:20], v[23:24], s[38:39]
	v_fma_f64 v[25:26], v[21:22], v[25:26], s[38:39]
	;; [unrolled: 1-line block ×3, first 2 shown]
	v_add_f64 v[49:50], -v[43:44], 1.0
	v_fma_f64 v[45:46], v[21:22], v[45:46], s[24:25]
	v_add_f64 v[51:52], -v[47:48], 1.0
	v_fma_f64 v[23:24], v[19:20], v[23:24], s[40:41]
	v_fma_f64 v[25:26], v[21:22], v[25:26], s[40:41]
	;; [unrolled: 1-line block ×3, first 2 shown]
	v_add_f64 v[57:58], -v[49:50], 1.0
	v_fma_f64 v[45:46], v[21:22], v[45:46], s[26:27]
	v_add_f64 v[63:64], -v[51:52], 1.0
	v_fma_f64 v[23:24], v[19:20], v[23:24], s[42:43]
	v_fma_f64 v[25:26], v[21:22], v[25:26], s[42:43]
	v_fma_f64 v[41:42], v[19:20], v[41:42], s[28:29]
	v_add_f64 v[43:44], v[57:58], -v[43:44]
	v_fma_f64 v[45:46], v[21:22], v[45:46], s[28:29]
	v_add_f64 v[47:48], v[63:64], -v[47:48]
	v_fma_f64 v[23:24], v[55:56], v[23:24], v[53:54]
	v_fma_f64 v[25:26], v[61:62], v[25:26], v[59:60]
	v_mul_f64 v[53:54], v[19:20], v[19:20]
	v_fma_f64 v[41:42], v[19:20], v[41:42], s[30:31]
	v_fma_f64 v[43:44], v[15:16], -v[17:18], v[43:44]
	v_fma_f64 v[17:18], v[19:20], v[23:24], -v[17:18]
	v_mul_f64 v[19:20], v[21:22], v[21:22]
	v_fma_f64 v[23:24], v[21:22], v[45:46], s[30:31]
	v_fma_f64 v[45:46], v[27:28], -v[29:30], v[47:48]
	v_fma_f64 v[21:22], v[21:22], v[25:26], -v[29:30]
	v_fma_f64 v[25:26], v[53:54], v[41:42], v[43:44]
	v_fma_f64 v[17:18], v[55:56], s[44:45], v[17:18]
	s_delay_alu instid0(VALU_DEP_4) | instskip(NEXT) | instid1(VALU_DEP_4)
	v_fma_f64 v[19:20], v[19:20], v[23:24], v[45:46]
	v_fma_f64 v[21:22], v[61:62], s[44:45], v[21:22]
	s_delay_alu instid0(VALU_DEP_4) | instskip(NEXT) | instid1(VALU_DEP_4)
	v_add_f64 v[23:24], v[49:50], v[25:26]
	v_add_f64 v[15:16], v[15:16], -v[17:18]
	s_delay_alu instid0(VALU_DEP_4) | instskip(NEXT) | instid1(VALU_DEP_4)
	v_add_f64 v[17:18], v[51:52], v[19:20]
	v_add_f64 v[19:20], v[27:28], -v[21:22]
	s_delay_alu instid0(VALU_DEP_3) | instskip(NEXT) | instid1(VALU_DEP_4)
	v_dual_cndmask_b32 v12, v15, v23 :: v_dual_and_b32 v15, 1, v40
	v_xor_b32_e32 v16, 0x80000000, v16
	v_and_b32_e32 v13, 0x80000000, v13
	s_delay_alu instid0(VALU_DEP_3) | instskip(NEXT) | instid1(VALU_DEP_4)
	v_cndmask_b32_e64 v12, 0, v12, s0
	v_cmp_eq_u32_e64 s1, 0, v15
	s_delay_alu instid0(VALU_DEP_4) | instskip(NEXT) | instid1(VALU_DEP_2)
	v_cndmask_b32_e32 v16, v16, v24, vcc_lo
	v_cndmask_b32_e64 v15, v18, v20, s1
	v_cndmask_b32_e64 v14, v17, v19, s1
	s_delay_alu instid0(VALU_DEP_2) | instskip(NEXT) | instid1(VALU_DEP_2)
	v_xor_b32_e32 v15, v15, v13
	v_cndmask_b32_e64 v13, 0, v14, s0
	s_delay_alu instid0(VALU_DEP_2) | instskip(SKIP_1) | instid1(VALU_DEP_1)
	v_cndmask_b32_e64 v14, 0x7ff80000, v15, s0
	s_waitcnt vmcnt(0)
	v_mul_f64 v[17:18], v[5:6], v[13:14]
	v_mul_f64 v[14:15], v[3:4], v[13:14]
	v_lshlrev_b32_e32 v13, 30, v38
	s_delay_alu instid0(VALU_DEP_1) | instskip(NEXT) | instid1(VALU_DEP_1)
	v_and_b32_e32 v13, 0x80000000, v13
	v_xor_b32_e32 v13, v16, v13
	s_delay_alu instid0(VALU_DEP_1) | instskip(NEXT) | instid1(VALU_DEP_1)
	v_cndmask_b32_e64 v13, 0x7ff80000, v13, s0
	v_fma_f64 v[3:4], v[3:4], v[12:13], -v[17:18]
	v_fma_f64 v[5:6], v[5:6], v[12:13], v[14:15]
	v_add_nc_u32_e64 v12, s33, 0
	s_add_i32 s33, s33, 16
	s_add_u32 s2, s2, 4
	s_addc_u32 s3, s3, 0
	s_cmpk_lg_i32 s33, 0x80
	scratch_store_b128 v12, v[3:6], off
	s_cbranch_scc0 .LBB1_10
.LBB1_2:                                ; =>This Inner Loop Header: Depth=1
	s_add_i32 s0, s33, 0
                                        ; implicit-def: $vgpr38
                                        ; implicit-def: $vgpr15_vgpr16
                                        ; implicit-def: $vgpr17_vgpr18
	scratch_load_b128 v[3:6], off, s0
	s_load_b32 s0, s[2:3], 0x0
	s_waitcnt lgkmcnt(0)
	v_cvt_f64_i32_e32 v[12:13], s0
	s_delay_alu instid0(VALU_DEP_1) | instskip(NEXT) | instid1(VALU_DEP_1)
	v_mul_f64 v[12:13], v[12:13], s[4:5]
	v_ldexp_f64 v[12:13], v[12:13], -9
	s_delay_alu instid0(VALU_DEP_1) | instskip(NEXT) | instid1(VALU_DEP_1)
	v_mul_f64 v[13:14], v[12:13], v[9:10]
	v_cmp_ngt_f64_e64 s1, 0x41d00000, |v[13:14]|
	v_trig_preop_f64 v[23:24], |v[13:14]|, 0
	v_trig_preop_f64 v[21:22], |v[13:14]|, 1
	v_ldexp_f64 v[25:26], |v[13:14]|, 0xffffff80
	v_trig_preop_f64 v[19:20], |v[13:14]|, 2
	v_and_b32_e32 v39, 0x7fffffff, v14
	s_and_saveexec_b32 s0, s1
	s_delay_alu instid0(SALU_CYCLE_1)
	s_xor_b32 s10, exec_lo, s0
	s_cbranch_execz .LBB1_4
; %bb.3:                                ;   in Loop: Header=BB1_2 Depth=1
	v_cmp_le_f64_e64 vcc_lo, 0x7b000000, |v[13:14]|
	s_mov_b32 s8, s6
	s_mov_b32 s13, s11
	s_delay_alu instid0(VALU_DEP_4) | instskip(NEXT) | instid1(VALU_DEP_1)
	v_dual_cndmask_b32 v16, v39, v26 :: v_dual_cndmask_b32 v15, v13, v25
	v_mul_f64 v[17:18], v[23:24], v[15:16]
	v_mul_f64 v[27:28], v[21:22], v[15:16]
	;; [unrolled: 1-line block ×3, first 2 shown]
	s_delay_alu instid0(VALU_DEP_3) | instskip(NEXT) | instid1(VALU_DEP_3)
	v_fma_f64 v[29:30], v[23:24], v[15:16], -v[17:18]
	v_fma_f64 v[50:51], v[21:22], v[15:16], -v[27:28]
	s_delay_alu instid0(VALU_DEP_3) | instskip(NEXT) | instid1(VALU_DEP_3)
	v_fma_f64 v[15:16], v[19:20], v[15:16], -v[48:49]
	v_add_f64 v[40:41], v[27:28], v[29:30]
	s_delay_alu instid0(VALU_DEP_1) | instskip(SKIP_1) | instid1(VALU_DEP_2)
	v_add_f64 v[42:43], v[40:41], -v[27:28]
	v_add_f64 v[46:47], v[17:18], v[40:41]
	v_add_f64 v[44:45], v[40:41], -v[42:43]
	v_add_f64 v[29:30], v[29:30], -v[42:43]
	s_delay_alu instid0(VALU_DEP_3) | instskip(SKIP_1) | instid1(VALU_DEP_4)
	v_ldexp_f64 v[42:43], v[46:47], -2
	v_add_f64 v[17:18], v[46:47], -v[17:18]
	v_add_f64 v[27:28], v[27:28], -v[44:45]
	v_add_f64 v[44:45], v[48:49], v[50:51]
	s_delay_alu instid0(VALU_DEP_4) | instskip(NEXT) | instid1(VALU_DEP_4)
	v_cmp_neq_f64_e64 vcc_lo, 0x7ff00000, |v[42:43]|
	v_add_f64 v[17:18], v[40:41], -v[17:18]
	s_delay_alu instid0(VALU_DEP_4) | instskip(SKIP_1) | instid1(VALU_DEP_2)
	v_add_f64 v[27:28], v[29:30], v[27:28]
	v_fract_f64_e32 v[29:30], v[42:43]
	v_add_f64 v[40:41], v[44:45], v[27:28]
	s_delay_alu instid0(VALU_DEP_2) | instskip(NEXT) | instid1(VALU_DEP_1)
	v_dual_cndmask_b32 v30, 0, v30 :: v_dual_cndmask_b32 v29, 0, v29
	v_ldexp_f64 v[29:30], v[29:30], 2
	s_delay_alu instid0(VALU_DEP_3) | instskip(SKIP_1) | instid1(VALU_DEP_2)
	v_add_f64 v[42:43], v[17:18], v[40:41]
	v_add_f64 v[52:53], v[40:41], -v[44:45]
	v_add_f64 v[46:47], v[42:43], v[29:30]
	s_delay_alu instid0(VALU_DEP_2) | instskip(SKIP_2) | instid1(VALU_DEP_4)
	v_add_f64 v[58:59], v[40:41], -v[52:53]
	v_add_f64 v[27:28], v[27:28], -v[52:53]
	;; [unrolled: 1-line block ×3, first 2 shown]
	v_cmp_gt_f64_e32 vcc_lo, 0, v[46:47]
	v_add_f64 v[46:47], v[44:45], -v[48:49]
	s_delay_alu instid0(VALU_DEP_3) | instskip(SKIP_1) | instid1(VALU_DEP_3)
	v_add_f64 v[17:18], v[40:41], -v[17:18]
	v_cndmask_b32_e64 v12, 0, 0x40100000, vcc_lo
	v_add_f64 v[56:57], v[44:45], -v[46:47]
	v_add_f64 v[46:47], v[50:51], -v[46:47]
	;; [unrolled: 1-line block ×3, first 2 shown]
	s_delay_alu instid0(VALU_DEP_4) | instskip(NEXT) | instid1(VALU_DEP_4)
	v_add_f64 v[29:30], v[29:30], v[11:12]
	v_add_f64 v[50:51], v[48:49], -v[56:57]
	s_delay_alu instid0(VALU_DEP_3) | instskip(NEXT) | instid1(VALU_DEP_3)
	v_add_f64 v[27:28], v[27:28], v[44:45]
	v_add_f64 v[54:55], v[42:43], v[29:30]
	s_delay_alu instid0(VALU_DEP_3) | instskip(NEXT) | instid1(VALU_DEP_2)
	v_add_f64 v[46:47], v[46:47], v[50:51]
	v_cvt_i32_f64_e32 v12, v[54:55]
	s_delay_alu instid0(VALU_DEP_2) | instskip(NEXT) | instid1(VALU_DEP_2)
	v_add_f64 v[27:28], v[46:47], v[27:28]
	v_cvt_f64_i32_e32 v[52:53], v12
	s_delay_alu instid0(VALU_DEP_2) | instskip(NEXT) | instid1(VALU_DEP_2)
	v_add_f64 v[15:16], v[15:16], v[27:28]
	v_add_f64 v[29:30], v[29:30], -v[52:53]
	s_delay_alu instid0(VALU_DEP_2) | instskip(NEXT) | instid1(VALU_DEP_2)
	v_add_f64 v[15:16], v[17:18], v[15:16]
	v_add_f64 v[44:45], v[42:43], v[29:30]
	s_delay_alu instid0(VALU_DEP_1) | instskip(SKIP_1) | instid1(VALU_DEP_2)
	v_add_f64 v[27:28], v[44:45], -v[29:30]
	v_cmp_le_f64_e32 vcc_lo, 0.5, v[44:45]
	v_add_f64 v[17:18], v[42:43], -v[27:28]
	v_add_co_ci_u32_e64 v38, s0, 0, v12, vcc_lo
	v_cndmask_b32_e64 v12, 0, 0x3ff00000, vcc_lo
	s_delay_alu instid0(VALU_DEP_3) | instskip(NEXT) | instid1(VALU_DEP_2)
	v_add_f64 v[15:16], v[15:16], v[17:18]
	v_add_f64 v[17:18], v[44:45], -v[11:12]
	s_delay_alu instid0(VALU_DEP_1) | instskip(NEXT) | instid1(VALU_DEP_1)
	v_add_f64 v[27:28], v[17:18], v[15:16]
	v_mul_f64 v[29:30], v[27:28], s[8:9]
	v_add_f64 v[17:18], v[27:28], -v[17:18]
	s_delay_alu instid0(VALU_DEP_2) | instskip(NEXT) | instid1(VALU_DEP_2)
	v_fma_f64 v[40:41], v[27:28], s[8:9], -v[29:30]
	v_add_f64 v[15:16], v[15:16], -v[17:18]
	s_delay_alu instid0(VALU_DEP_2) | instskip(NEXT) | instid1(VALU_DEP_1)
	v_fma_f64 v[17:18], v[27:28], s[12:13], v[40:41]
	v_fma_f64 v[17:18], v[15:16], s[8:9], v[17:18]
	s_delay_alu instid0(VALU_DEP_1) | instskip(NEXT) | instid1(VALU_DEP_1)
	v_add_f64 v[15:16], v[29:30], v[17:18]
	v_add_f64 v[27:28], v[15:16], -v[29:30]
	s_delay_alu instid0(VALU_DEP_1)
	v_add_f64 v[17:18], v[17:18], -v[27:28]
	s_and_not1_saveexec_b32 s0, s10
	s_cbranch_execz .LBB1_6
	s_branch .LBB1_5
.LBB1_4:                                ;   in Loop: Header=BB1_2 Depth=1
	s_and_not1_saveexec_b32 s0, s10
	s_cbranch_execz .LBB1_6
.LBB1_5:                                ;   in Loop: Header=BB1_2 Depth=1
	v_mul_f64 v[15:16], |v[13:14]|, s[14:15]
	s_mov_b32 s10, s16
	s_delay_alu instid0(VALU_DEP_1) | instskip(NEXT) | instid1(VALU_DEP_1)
	v_rndne_f64_e32 v[27:28], v[15:16]
	v_fma_f64 v[15:16], v[27:28], s[6:7], |v[13:14]|
	v_mul_f64 v[17:18], v[27:28], s[16:17]
	v_cvt_i32_f64_e32 v38, v[27:28]
	s_delay_alu instid0(VALU_DEP_3) | instskip(NEXT) | instid1(VALU_DEP_3)
	v_fma_f64 v[40:41], v[27:28], s[16:17], v[15:16]
	v_add_f64 v[29:30], v[15:16], v[17:18]
	s_delay_alu instid0(VALU_DEP_1) | instskip(NEXT) | instid1(VALU_DEP_3)
	v_add_f64 v[15:16], v[15:16], -v[29:30]
	v_add_f64 v[29:30], v[29:30], -v[40:41]
	s_delay_alu instid0(VALU_DEP_2) | instskip(SKIP_1) | instid1(VALU_DEP_2)
	v_add_f64 v[15:16], v[15:16], v[17:18]
	v_fma_f64 v[17:18], v[27:28], s[10:11], v[17:18]
	v_add_f64 v[15:16], v[29:30], v[15:16]
	s_delay_alu instid0(VALU_DEP_1) | instskip(NEXT) | instid1(VALU_DEP_1)
	v_add_f64 v[15:16], v[15:16], -v[17:18]
	v_fma_f64 v[17:18], v[27:28], s[18:19], v[15:16]
	s_delay_alu instid0(VALU_DEP_1) | instskip(NEXT) | instid1(VALU_DEP_1)
	v_add_f64 v[15:16], v[40:41], v[17:18]
	v_add_f64 v[29:30], v[15:16], -v[40:41]
	s_delay_alu instid0(VALU_DEP_1)
	v_add_f64 v[17:18], v[17:18], -v[29:30]
.LBB1_6:                                ;   in Loop: Header=BB1_2 Depth=1
	s_or_b32 exec_lo, exec_lo, s0
                                        ; implicit-def: $vgpr40
                                        ; implicit-def: $vgpr27_vgpr28
                                        ; implicit-def: $vgpr29_vgpr30
	s_and_saveexec_b32 s0, s1
	s_delay_alu instid0(SALU_CYCLE_1)
	s_xor_b32 s1, exec_lo, s0
	s_cbranch_execz .LBB1_8
; %bb.7:                                ;   in Loop: Header=BB1_2 Depth=1
	v_cmp_le_f64_e64 vcc_lo, 0x7b000000, |v[13:14]|
	s_mov_b32 s8, s6
	s_mov_b32 s13, s11
	s_delay_alu instid0(VALU_DEP_4) | instskip(NEXT) | instid1(VALU_DEP_1)
	v_dual_cndmask_b32 v26, v39, v26 :: v_dual_cndmask_b32 v25, v13, v25
	v_mul_f64 v[27:28], v[23:24], v[25:26]
	v_mul_f64 v[29:30], v[21:22], v[25:26]
	;; [unrolled: 1-line block ×3, first 2 shown]
	s_delay_alu instid0(VALU_DEP_3) | instskip(NEXT) | instid1(VALU_DEP_3)
	v_fma_f64 v[23:24], v[23:24], v[25:26], -v[27:28]
	v_fma_f64 v[21:22], v[21:22], v[25:26], -v[29:30]
	s_delay_alu instid0(VALU_DEP_3) | instskip(NEXT) | instid1(VALU_DEP_3)
	v_fma_f64 v[19:20], v[19:20], v[25:26], -v[47:48]
	v_add_f64 v[39:40], v[29:30], v[23:24]
	s_delay_alu instid0(VALU_DEP_1) | instskip(SKIP_1) | instid1(VALU_DEP_2)
	v_add_f64 v[41:42], v[39:40], -v[29:30]
	v_add_f64 v[45:46], v[27:28], v[39:40]
	v_add_f64 v[43:44], v[39:40], -v[41:42]
	v_add_f64 v[23:24], v[23:24], -v[41:42]
	s_delay_alu instid0(VALU_DEP_3) | instskip(SKIP_1) | instid1(VALU_DEP_4)
	v_ldexp_f64 v[41:42], v[45:46], -2
	v_add_f64 v[27:28], v[45:46], -v[27:28]
	v_add_f64 v[29:30], v[29:30], -v[43:44]
	v_add_f64 v[43:44], v[47:48], v[21:22]
	s_delay_alu instid0(VALU_DEP_4) | instskip(NEXT) | instid1(VALU_DEP_4)
	v_cmp_neq_f64_e64 vcc_lo, 0x7ff00000, |v[41:42]|
	v_add_f64 v[27:28], v[39:40], -v[27:28]
	s_delay_alu instid0(VALU_DEP_4) | instskip(SKIP_1) | instid1(VALU_DEP_2)
	v_add_f64 v[23:24], v[23:24], v[29:30]
	v_fract_f64_e32 v[29:30], v[41:42]
	v_add_f64 v[39:40], v[43:44], v[23:24]
	s_delay_alu instid0(VALU_DEP_2) | instskip(NEXT) | instid1(VALU_DEP_1)
	v_dual_cndmask_b32 v30, 0, v30 :: v_dual_cndmask_b32 v29, 0, v29
	v_ldexp_f64 v[29:30], v[29:30], 2
	s_delay_alu instid0(VALU_DEP_3) | instskip(SKIP_1) | instid1(VALU_DEP_2)
	v_add_f64 v[41:42], v[27:28], v[39:40]
	v_add_f64 v[49:50], v[39:40], -v[43:44]
	v_add_f64 v[45:46], v[41:42], v[29:30]
	s_delay_alu instid0(VALU_DEP_2) | instskip(SKIP_2) | instid1(VALU_DEP_4)
	v_add_f64 v[55:56], v[39:40], -v[49:50]
	v_add_f64 v[23:24], v[23:24], -v[49:50]
	;; [unrolled: 1-line block ×3, first 2 shown]
	v_cmp_gt_f64_e32 vcc_lo, 0, v[45:46]
	v_add_f64 v[45:46], v[43:44], -v[47:48]
	s_delay_alu instid0(VALU_DEP_3) | instskip(SKIP_1) | instid1(VALU_DEP_3)
	v_add_f64 v[25:26], v[39:40], -v[25:26]
	v_cndmask_b32_e64 v12, 0, 0x40100000, vcc_lo
	v_add_f64 v[53:54], v[43:44], -v[45:46]
	v_add_f64 v[21:22], v[21:22], -v[45:46]
	;; [unrolled: 1-line block ×3, first 2 shown]
	s_delay_alu instid0(VALU_DEP_4) | instskip(NEXT) | instid1(VALU_DEP_4)
	v_add_f64 v[29:30], v[29:30], v[11:12]
	v_add_f64 v[45:46], v[47:48], -v[53:54]
	s_delay_alu instid0(VALU_DEP_3) | instskip(NEXT) | instid1(VALU_DEP_3)
	v_add_f64 v[23:24], v[23:24], v[43:44]
	v_add_f64 v[51:52], v[41:42], v[29:30]
	s_delay_alu instid0(VALU_DEP_3) | instskip(NEXT) | instid1(VALU_DEP_2)
	v_add_f64 v[21:22], v[21:22], v[45:46]
	v_cvt_i32_f64_e32 v12, v[51:52]
	s_delay_alu instid0(VALU_DEP_2) | instskip(NEXT) | instid1(VALU_DEP_2)
	v_add_f64 v[21:22], v[21:22], v[23:24]
	v_cvt_f64_i32_e32 v[49:50], v12
	s_delay_alu instid0(VALU_DEP_2) | instskip(NEXT) | instid1(VALU_DEP_2)
	v_add_f64 v[19:20], v[19:20], v[21:22]
	v_add_f64 v[29:30], v[29:30], -v[49:50]
	s_delay_alu instid0(VALU_DEP_2) | instskip(NEXT) | instid1(VALU_DEP_2)
	v_add_f64 v[19:20], v[25:26], v[19:20]
	v_add_f64 v[23:24], v[41:42], v[29:30]
	s_delay_alu instid0(VALU_DEP_1) | instskip(SKIP_1) | instid1(VALU_DEP_2)
	v_add_f64 v[21:22], v[23:24], -v[29:30]
	v_cmp_le_f64_e32 vcc_lo, 0.5, v[23:24]
	v_add_f64 v[21:22], v[41:42], -v[21:22]
	v_add_co_ci_u32_e64 v40, s0, 0, v12, vcc_lo
	v_cndmask_b32_e64 v12, 0, 0x3ff00000, vcc_lo
	s_delay_alu instid0(VALU_DEP_3) | instskip(NEXT) | instid1(VALU_DEP_2)
	v_add_f64 v[19:20], v[19:20], v[21:22]
	v_add_f64 v[21:22], v[23:24], -v[11:12]
	s_delay_alu instid0(VALU_DEP_1) | instskip(NEXT) | instid1(VALU_DEP_1)
	v_add_f64 v[23:24], v[21:22], v[19:20]
	v_mul_f64 v[25:26], v[23:24], s[8:9]
	v_add_f64 v[21:22], v[23:24], -v[21:22]
	s_delay_alu instid0(VALU_DEP_2) | instskip(NEXT) | instid1(VALU_DEP_2)
	v_fma_f64 v[27:28], v[23:24], s[8:9], -v[25:26]
	v_add_f64 v[19:20], v[19:20], -v[21:22]
	s_delay_alu instid0(VALU_DEP_2) | instskip(NEXT) | instid1(VALU_DEP_1)
	v_fma_f64 v[21:22], v[23:24], s[12:13], v[27:28]
	v_fma_f64 v[19:20], v[19:20], s[8:9], v[21:22]
	s_delay_alu instid0(VALU_DEP_1) | instskip(NEXT) | instid1(VALU_DEP_1)
	v_add_f64 v[27:28], v[25:26], v[19:20]
	v_add_f64 v[21:22], v[27:28], -v[25:26]
	s_delay_alu instid0(VALU_DEP_1)
	v_add_f64 v[29:30], v[19:20], -v[21:22]
	s_and_not1_saveexec_b32 s0, s1
	s_cbranch_execz .LBB1_1
	s_branch .LBB1_9
.LBB1_8:                                ;   in Loop: Header=BB1_2 Depth=1
	s_and_not1_saveexec_b32 s0, s1
	s_cbranch_execz .LBB1_1
.LBB1_9:                                ;   in Loop: Header=BB1_2 Depth=1
	v_mul_f64 v[19:20], |v[13:14]|, s[14:15]
	s_mov_b32 s10, s16
	s_delay_alu instid0(VALU_DEP_1) | instskip(NEXT) | instid1(VALU_DEP_1)
	v_rndne_f64_e32 v[19:20], v[19:20]
	v_fma_f64 v[21:22], v[19:20], s[6:7], |v[13:14]|
	v_mul_f64 v[23:24], v[19:20], s[16:17]
	v_cvt_i32_f64_e32 v40, v[19:20]
	s_delay_alu instid0(VALU_DEP_3) | instskip(NEXT) | instid1(VALU_DEP_3)
	v_fma_f64 v[29:30], v[19:20], s[16:17], v[21:22]
	v_add_f64 v[25:26], v[21:22], v[23:24]
	s_delay_alu instid0(VALU_DEP_1) | instskip(NEXT) | instid1(VALU_DEP_3)
	v_add_f64 v[21:22], v[21:22], -v[25:26]
	v_add_f64 v[25:26], v[25:26], -v[29:30]
	s_delay_alu instid0(VALU_DEP_2) | instskip(SKIP_1) | instid1(VALU_DEP_2)
	v_add_f64 v[21:22], v[21:22], v[23:24]
	v_fma_f64 v[23:24], v[19:20], s[10:11], v[23:24]
	v_add_f64 v[21:22], v[25:26], v[21:22]
	s_delay_alu instid0(VALU_DEP_1) | instskip(NEXT) | instid1(VALU_DEP_1)
	v_add_f64 v[21:22], v[21:22], -v[23:24]
	v_fma_f64 v[21:22], v[19:20], s[18:19], v[21:22]
	s_delay_alu instid0(VALU_DEP_1) | instskip(NEXT) | instid1(VALU_DEP_1)
	v_add_f64 v[27:28], v[29:30], v[21:22]
	v_add_f64 v[23:24], v[27:28], -v[29:30]
	s_delay_alu instid0(VALU_DEP_1)
	v_add_f64 v[29:30], v[21:22], -v[23:24]
	s_branch .LBB1_1
.LBB1_10:
	s_clause 0x6
	scratch_load_b64 v[3:4], off, off offset:64
	scratch_load_b64 v[9:10], off, off offset:48
	scratch_load_b64 v[11:12], off, off offset:32
	scratch_load_b64 v[13:14], off, off offset:16
	scratch_load_b64 v[15:16], off, off offset:112
	scratch_load_b64 v[17:18], off, off offset:96
	scratch_load_b64 v[19:20], off, off offset:80
	v_and_b32_e32 v38, 7, v0
	v_lshlrev_b32_e32 v6, 3, v0
	v_lshrrev_b32_e32 v39, 3, v0
	s_mov_b32 s0, 0x667f3bcd
	s_mov_b32 s1, 0x3fe6a09e
	v_mul_u32_u24_e32 v0, 0x42, v38
	v_add_nc_u32_e32 v21, 0x800, v6
	s_mov_b32 s4, 0x54442d18
	s_mov_b32 s6, 0x54442d18
	;; [unrolled: 1-line block ×3, first 2 shown]
	v_add_lshl_u32 v22, v0, v39, 3
	s_mov_b32 s16, 0x33145c00
	s_mov_b32 s18, 0x252049c0
	;; [unrolled: 1-line block ×35, first 2 shown]
	s_getpc_b64 s[2:3]
	s_add_u32 s2, s2, __const._Z10ifft1D_512P15HIP_vector_typeIdLj2EE.reversed@rel32@lo+8
	s_addc_u32 s3, s3, __const._Z10ifft1D_512P15HIP_vector_typeIdLj2EE.reversed@rel32@hi+16
	s_waitcnt vmcnt(6)
	ds_store_2addr_b64 v6, v[1:2], v[3:4] offset1:66
	s_waitcnt vmcnt(1)
	ds_store_2addr_b64 v6, v[11:12], v[17:18] offset0:132 offset1:198
	s_waitcnt vmcnt(0)
	ds_store_2addr_b64 v21, v[13:14], v[19:20] offset0:8 offset1:74
	ds_store_2addr_b64 v21, v[9:10], v[15:16] offset0:140 offset1:206
	s_waitcnt lgkmcnt(0)
	s_waitcnt_vscnt null, 0x0
	s_barrier
	buffer_gl0_inv
	ds_load_2addr_b64 v[0:3], v22 offset1:8
	ds_load_2addr_b64 v[9:12], v22 offset0:16 offset1:24
	ds_load_2addr_b64 v[13:16], v22 offset0:32 offset1:40
	;; [unrolled: 1-line block ×3, first 2 shown]
	s_waitcnt lgkmcnt(3)
	s_clause 0x1
	scratch_store_b64 off, v[0:1], off
	scratch_store_b64 off, v[2:3], off offset:16
	s_waitcnt lgkmcnt(2)
	s_clause 0x1
	scratch_store_b64 off, v[9:10], off offset:32
	scratch_store_b64 off, v[11:12], off offset:48
	s_waitcnt lgkmcnt(1)
	s_clause 0x1
	scratch_store_b64 off, v[13:14], off offset:64
	;; [unrolled: 4-line block ×3, first 2 shown]
	scratch_store_b64 off, v[19:20], off offset:112
	s_waitcnt_vscnt null, 0x0
	s_barrier
	buffer_gl0_inv
	s_clause 0x7
	scratch_load_b64 v[0:1], off, off offset:8
	scratch_load_b64 v[2:3], off, off offset:72
	;; [unrolled: 1-line block ×8, first 2 shown]
	s_waitcnt vmcnt(6)
	ds_store_2addr_b64 v6, v[0:1], v[2:3] offset1:66
	s_waitcnt vmcnt(1)
	ds_store_2addr_b64 v6, v[9:10], v[15:16] offset0:132 offset1:198
	s_waitcnt vmcnt(0)
	ds_store_2addr_b64 v21, v[11:12], v[17:18] offset0:8 offset1:74
	ds_store_2addr_b64 v21, v[4:5], v[13:14] offset0:140 offset1:206
	s_waitcnt lgkmcnt(0)
	s_barrier
	buffer_gl0_inv
	ds_load_2addr_b64 v[0:3], v22 offset1:8
	ds_load_2addr_b64 v[9:12], v22 offset0:16 offset1:24
	ds_load_2addr_b64 v[13:16], v22 offset0:32 offset1:40
	;; [unrolled: 1-line block ×3, first 2 shown]
	s_waitcnt lgkmcnt(3)
	s_clause 0x1
	scratch_store_b64 off, v[0:1], off offset:8
	scratch_store_b64 off, v[2:3], off offset:24
	s_waitcnt lgkmcnt(2)
	s_clause 0x1
	scratch_store_b64 off, v[9:10], off offset:40
	scratch_store_b64 off, v[11:12], off offset:56
	;; [unrolled: 4-line block ×4, first 2 shown]
	s_waitcnt_vscnt null, 0x0
	s_barrier
	buffer_gl0_inv
	s_clause 0x7
	scratch_load_b128 v[0:3], off, off offset:48
	scratch_load_b128 v[9:12], off, off offset:112
	;; [unrolled: 1-line block ×6, first 2 shown]
	scratch_load_b128 v[40:43], off, off
	scratch_load_b128 v[44:47], off, off offset:64
	s_waitcnt vmcnt(6)
	v_add_f64 v[4:5], v[0:1], -v[9:10]
	v_add_f64 v[29:30], v[2:3], -v[11:12]
	s_waitcnt vmcnt(4)
	v_add_f64 v[48:49], v[13:14], -v[17:18]
	v_add_f64 v[50:51], v[15:16], -v[19:20]
	v_add_f64 v[13:14], v[13:14], v[17:18]
	v_add_f64 v[15:16], v[15:16], v[19:20]
	;; [unrolled: 1-line block ×4, first 2 shown]
	s_waitcnt vmcnt(2)
	v_add_f64 v[9:10], v[21:22], -v[25:26]
	v_add_f64 v[11:12], v[23:24], -v[27:28]
	v_add_f64 v[21:22], v[21:22], v[25:26]
	v_add_f64 v[23:24], v[23:24], v[27:28]
	s_waitcnt vmcnt(0)
	v_add_f64 v[25:26], v[40:41], -v[44:45]
	v_add_f64 v[52:53], -v[4:5], -v[29:30]
	v_add_f64 v[4:5], v[4:5], -v[29:30]
	v_add_f64 v[17:18], v[48:49], -v[50:51]
	v_add_f64 v[19:20], v[48:49], v[50:51]
	v_add_f64 v[48:49], v[40:41], v[44:45]
	;; [unrolled: 1-line block ×3, first 2 shown]
	v_add_f64 v[27:28], v[13:14], -v[0:1]
	v_add_f64 v[40:41], v[15:16], -v[2:3]
	;; [unrolled: 1-line block ×3, first 2 shown]
	v_fma_f64 v[44:45], v[9:10], 0, -v[11:12]
	v_fma_f64 v[9:10], v[11:12], 0, v[9:10]
	v_add_f64 v[13:14], v[13:14], v[0:1]
	v_add_f64 v[15:16], v[15:16], v[2:3]
	v_mul_f64 v[29:30], v[52:53], s[0:1]
	v_mul_f64 v[4:5], v[4:5], s[0:1]
	v_add_f64 v[52:53], v[48:49], v[21:22]
	v_add_f64 v[54:55], v[50:51], v[23:24]
	v_add_f64 v[21:22], v[48:49], -v[21:22]
	v_add_f64 v[23:24], v[50:51], -v[23:24]
	v_fma_f64 v[48:49], v[27:28], 0, -v[40:41]
	v_fma_f64 v[27:28], v[40:41], 0, v[27:28]
	v_add_f64 v[50:51], v[42:43], v[9:10]
	v_add_f64 v[9:10], v[42:43], -v[9:10]
	v_add_f64 v[40:41], v[25:26], v[44:45]
	v_add_f64 v[56:57], v[25:26], -v[44:45]
	v_fma_f64 v[11:12], v[17:18], s[0:1], -v[29:30]
	v_fma_f64 v[46:47], v[19:20], s[0:1], -v[4:5]
	v_fma_f64 v[4:5], v[19:20], s[0:1], v[4:5]
	v_fma_f64 v[29:30], v[17:18], s[0:1], v[29:30]
	v_add_f64 v[0:1], v[52:53], v[13:14]
	v_add_f64 v[2:3], v[54:55], v[15:16]
	;; [unrolled: 1-line block ×3, first 2 shown]
	v_fma_f64 v[60:61], v[46:47], 0, v[11:12]
	v_fma_f64 v[58:59], v[11:12], 0, -v[46:47]
	v_mov_b32_e32 v11, 0
	v_add_f64 v[12:13], v[52:53], -v[13:14]
	v_add_f64 v[14:15], v[54:55], -v[15:16]
	v_add_f64 v[16:17], v[21:22], v[48:49]
	v_add_f64 v[20:21], v[21:22], -v[48:49]
	v_add_f64 v[22:23], v[23:24], -v[27:28]
	v_add_f64 v[26:27], v[50:51], v[4:5]
	v_add_f64 v[42:43], v[50:51], -v[4:5]
	v_add_f64 v[24:25], v[40:41], v[29:30]
	;; [unrolled: 2-line block ×3, first 2 shown]
	v_add_f64 v[50:51], v[9:10], -v[60:61]
	v_cvt_f64_u32_e32 v[9:10], v39
	v_add_f64 v[44:45], v[56:57], v[58:59]
	v_add_f64 v[48:49], v[56:57], -v[58:59]
	s_clause 0x7
	scratch_store_b128 off, v[0:3], off
	scratch_store_b128 off, v[12:15], off offset:16
	scratch_store_b128 off, v[16:19], off offset:32
	;; [unrolled: 1-line block ×7, first 2 shown]
	s_branch .LBB1_12
.LBB1_11:                               ;   in Loop: Header=BB1_12 Depth=1
	s_or_b32 exec_lo, exec_lo, s0
	v_mul_f64 v[19:20], v[15:16], v[15:16]
	v_mul_f64 v[21:22], v[27:28], v[27:28]
	s_delay_alu instid0(VALU_DEP_3) | instskip(NEXT) | instid1(VALU_DEP_4)
	v_mul_f64 v[55:56], v[17:18], 0.5
	v_mul_f64 v[61:62], v[29:30], 0.5
	v_cmp_class_f64_e64 s0, v[13:14], 0x1f8
	v_and_b32_e32 v12, 1, v40
	v_lshlrev_b32_e32 v13, 30, v42
	s_delay_alu instid0(VALU_DEP_2) | instskip(NEXT) | instid1(VALU_DEP_2)
	v_cmp_eq_u32_e32 vcc_lo, 0, v12
	v_xor_b32_e32 v13, v13, v14
	s_delay_alu instid0(VALU_DEP_1)
	v_and_b32_e32 v13, 0x80000000, v13
	v_fma_f64 v[23:24], v[19:20], s[38:39], s[36:37]
	v_fma_f64 v[25:26], v[21:22], s[38:39], s[36:37]
	;; [unrolled: 1-line block ×3, first 2 shown]
	v_mul_f64 v[45:46], v[19:20], 0.5
	v_fma_f64 v[47:48], v[21:22], s[22:23], s[20:21]
	v_mul_f64 v[49:50], v[21:22], 0.5
	v_mul_f64 v[57:58], v[15:16], -v[19:20]
	v_mul_f64 v[63:64], v[27:28], -v[21:22]
	v_fma_f64 v[23:24], v[19:20], v[23:24], s[40:41]
	v_fma_f64 v[25:26], v[21:22], v[25:26], s[40:41]
	;; [unrolled: 1-line block ×3, first 2 shown]
	v_add_f64 v[51:52], -v[45:46], 1.0
	v_fma_f64 v[47:48], v[21:22], v[47:48], s[24:25]
	v_add_f64 v[53:54], -v[49:50], 1.0
	v_fma_f64 v[23:24], v[19:20], v[23:24], s[42:43]
	v_fma_f64 v[25:26], v[21:22], v[25:26], s[42:43]
	;; [unrolled: 1-line block ×3, first 2 shown]
	v_add_f64 v[59:60], -v[51:52], 1.0
	v_fma_f64 v[47:48], v[21:22], v[47:48], s[26:27]
	v_add_f64 v[65:66], -v[53:54], 1.0
	v_fma_f64 v[23:24], v[19:20], v[23:24], s[44:45]
	v_fma_f64 v[25:26], v[21:22], v[25:26], s[44:45]
	;; [unrolled: 1-line block ×3, first 2 shown]
	v_add_f64 v[45:46], v[59:60], -v[45:46]
	v_fma_f64 v[47:48], v[21:22], v[47:48], s[28:29]
	v_add_f64 v[49:50], v[65:66], -v[49:50]
	v_fma_f64 v[23:24], v[57:58], v[23:24], v[55:56]
	v_fma_f64 v[25:26], v[63:64], v[25:26], v[61:62]
	v_mul_f64 v[55:56], v[19:20], v[19:20]
	v_fma_f64 v[43:44], v[19:20], v[43:44], s[30:31]
	v_fma_f64 v[45:46], v[15:16], -v[17:18], v[45:46]
	v_fma_f64 v[17:18], v[19:20], v[23:24], -v[17:18]
	v_mul_f64 v[19:20], v[21:22], v[21:22]
	v_fma_f64 v[23:24], v[21:22], v[47:48], s[30:31]
	v_fma_f64 v[47:48], v[27:28], -v[29:30], v[49:50]
	v_fma_f64 v[21:22], v[21:22], v[25:26], -v[29:30]
	v_fma_f64 v[25:26], v[55:56], v[43:44], v[45:46]
	v_fma_f64 v[17:18], v[57:58], s[34:35], v[17:18]
	s_delay_alu instid0(VALU_DEP_4) | instskip(NEXT) | instid1(VALU_DEP_4)
	v_fma_f64 v[19:20], v[19:20], v[23:24], v[47:48]
	v_fma_f64 v[21:22], v[63:64], s[34:35], v[21:22]
	s_delay_alu instid0(VALU_DEP_4) | instskip(NEXT) | instid1(VALU_DEP_4)
	v_add_f64 v[23:24], v[51:52], v[25:26]
	v_add_f64 v[15:16], v[15:16], -v[17:18]
	s_delay_alu instid0(VALU_DEP_4) | instskip(NEXT) | instid1(VALU_DEP_4)
	v_add_f64 v[17:18], v[53:54], v[19:20]
	v_add_f64 v[19:20], v[27:28], -v[21:22]
	s_delay_alu instid0(VALU_DEP_3) | instskip(NEXT) | instid1(VALU_DEP_4)
	v_cndmask_b32_e32 v12, v15, v23, vcc_lo
	v_xor_b32_e32 v16, 0x80000000, v16
	v_and_b32_e32 v15, 1, v42
	s_delay_alu instid0(VALU_DEP_3) | instskip(NEXT) | instid1(VALU_DEP_3)
	v_cndmask_b32_e64 v12, 0, v12, s0
	v_cndmask_b32_e32 v16, v16, v24, vcc_lo
	s_delay_alu instid0(VALU_DEP_3) | instskip(NEXT) | instid1(VALU_DEP_1)
	v_cmp_eq_u32_e64 s1, 0, v15
	v_cndmask_b32_e64 v15, v18, v20, s1
	v_cndmask_b32_e64 v14, v17, v19, s1
	s_delay_alu instid0(VALU_DEP_2) | instskip(NEXT) | instid1(VALU_DEP_2)
	v_xor_b32_e32 v15, v15, v13
	v_cndmask_b32_e64 v13, 0, v14, s0
	s_delay_alu instid0(VALU_DEP_2) | instskip(SKIP_1) | instid1(VALU_DEP_1)
	v_cndmask_b32_e64 v14, 0x7ff80000, v15, s0
	s_waitcnt vmcnt(0)
	v_mul_f64 v[17:18], v[4:5], v[13:14]
	v_mul_f64 v[14:15], v[2:3], v[13:14]
	v_lshlrev_b32_e32 v13, 30, v40
	s_delay_alu instid0(VALU_DEP_1) | instskip(NEXT) | instid1(VALU_DEP_1)
	v_and_b32_e32 v13, 0x80000000, v13
	v_xor_b32_e32 v13, v16, v13
	s_delay_alu instid0(VALU_DEP_1) | instskip(NEXT) | instid1(VALU_DEP_1)
	v_cndmask_b32_e64 v13, 0x7ff80000, v13, s0
	v_fma_f64 v[2:3], v[2:3], v[12:13], -v[17:18]
	v_fma_f64 v[4:5], v[4:5], v[12:13], v[14:15]
	v_add_nc_u32_e64 v12, s33, 0
	s_add_i32 s33, s33, 16
	s_add_u32 s2, s2, 4
	s_addc_u32 s3, s3, 0
	s_cmpk_lg_i32 s33, 0x80
	scratch_store_b128 v12, v[2:5], off
	s_cbranch_scc0 .LBB1_20
.LBB1_12:                               ; =>This Inner Loop Header: Depth=1
	s_add_i32 s0, s33, 0
                                        ; implicit-def: $vgpr40
                                        ; implicit-def: $vgpr15_vgpr16
                                        ; implicit-def: $vgpr17_vgpr18
	scratch_load_b128 v[2:5], off, s0
	s_load_b32 s0, s[2:3], 0x0
	s_waitcnt lgkmcnt(0)
	v_cvt_f64_i32_e32 v[12:13], s0
	s_delay_alu instid0(VALU_DEP_1) | instskip(NEXT) | instid1(VALU_DEP_1)
	v_mul_f64 v[12:13], v[12:13], s[4:5]
	v_ldexp_f64 v[12:13], v[12:13], -6
	s_delay_alu instid0(VALU_DEP_1) | instskip(NEXT) | instid1(VALU_DEP_1)
	v_mul_f64 v[13:14], v[12:13], v[9:10]
	v_cmp_ngt_f64_e64 s1, 0x41d00000, |v[13:14]|
	v_trig_preop_f64 v[23:24], |v[13:14]|, 0
	v_trig_preop_f64 v[21:22], |v[13:14]|, 1
	v_ldexp_f64 v[25:26], |v[13:14]|, 0xffffff80
	v_trig_preop_f64 v[19:20], |v[13:14]|, 2
	v_and_b32_e32 v41, 0x7fffffff, v14
	s_and_saveexec_b32 s0, s1
	s_delay_alu instid0(SALU_CYCLE_1)
	s_xor_b32 s10, exec_lo, s0
	s_cbranch_execz .LBB1_14
; %bb.13:                               ;   in Loop: Header=BB1_12 Depth=1
	v_cmp_le_f64_e64 vcc_lo, 0x7b000000, |v[13:14]|
	s_mov_b32 s8, s6
	s_mov_b32 s13, s11
	s_delay_alu instid0(VALU_DEP_4) | instskip(SKIP_1) | instid1(VALU_DEP_1)
	v_cndmask_b32_e32 v16, v41, v26, vcc_lo
	v_cndmask_b32_e32 v15, v13, v25, vcc_lo
	v_mul_f64 v[17:18], v[23:24], v[15:16]
	v_mul_f64 v[27:28], v[21:22], v[15:16]
	s_delay_alu instid0(VALU_DEP_2) | instskip(NEXT) | instid1(VALU_DEP_2)
	v_fma_f64 v[29:30], v[23:24], v[15:16], -v[17:18]
	v_fma_f64 v[52:53], v[21:22], v[15:16], -v[27:28]
	s_delay_alu instid0(VALU_DEP_2) | instskip(NEXT) | instid1(VALU_DEP_1)
	v_add_f64 v[42:43], v[27:28], v[29:30]
	v_add_f64 v[44:45], v[42:43], -v[27:28]
	v_add_f64 v[48:49], v[17:18], v[42:43]
	s_delay_alu instid0(VALU_DEP_2) | instskip(SKIP_1) | instid1(VALU_DEP_3)
	v_add_f64 v[46:47], v[42:43], -v[44:45]
	v_add_f64 v[29:30], v[29:30], -v[44:45]
	v_ldexp_f64 v[44:45], v[48:49], -2
	v_add_f64 v[17:18], v[48:49], -v[17:18]
	s_delay_alu instid0(VALU_DEP_4) | instskip(NEXT) | instid1(VALU_DEP_3)
	v_add_f64 v[27:28], v[27:28], -v[46:47]
	v_cmp_neq_f64_e64 vcc_lo, 0x7ff00000, |v[44:45]|
	s_delay_alu instid0(VALU_DEP_3) | instskip(NEXT) | instid1(VALU_DEP_3)
	v_add_f64 v[17:18], v[42:43], -v[17:18]
	v_add_f64 v[27:28], v[29:30], v[27:28]
	v_fract_f64_e32 v[29:30], v[44:45]
	s_delay_alu instid0(VALU_DEP_1) | instskip(SKIP_1) | instid1(VALU_DEP_2)
	v_dual_cndmask_b32 v30, 0, v30 :: v_dual_cndmask_b32 v29, 0, v29
	v_mul_f64 v[50:51], v[19:20], v[15:16]
	v_ldexp_f64 v[29:30], v[29:30], 2
	s_delay_alu instid0(VALU_DEP_2) | instskip(SKIP_1) | instid1(VALU_DEP_2)
	v_add_f64 v[46:47], v[50:51], v[52:53]
	v_fma_f64 v[15:16], v[19:20], v[15:16], -v[50:51]
	v_add_f64 v[42:43], v[46:47], v[27:28]
	s_delay_alu instid0(VALU_DEP_1) | instskip(SKIP_1) | instid1(VALU_DEP_2)
	v_add_f64 v[44:45], v[17:18], v[42:43]
	v_add_f64 v[54:55], v[42:43], -v[46:47]
	v_add_f64 v[48:49], v[44:45], v[29:30]
	s_delay_alu instid0(VALU_DEP_2) | instskip(SKIP_2) | instid1(VALU_DEP_4)
	v_add_f64 v[60:61], v[42:43], -v[54:55]
	v_add_f64 v[27:28], v[27:28], -v[54:55]
	;; [unrolled: 1-line block ×3, first 2 shown]
	v_cmp_gt_f64_e32 vcc_lo, 0, v[48:49]
	v_add_f64 v[48:49], v[46:47], -v[50:51]
	s_delay_alu instid0(VALU_DEP_3) | instskip(SKIP_1) | instid1(VALU_DEP_3)
	v_add_f64 v[17:18], v[42:43], -v[17:18]
	v_cndmask_b32_e64 v12, 0, 0x40100000, vcc_lo
	v_add_f64 v[58:59], v[46:47], -v[48:49]
	v_add_f64 v[48:49], v[52:53], -v[48:49]
	;; [unrolled: 1-line block ×3, first 2 shown]
	s_delay_alu instid0(VALU_DEP_4) | instskip(NEXT) | instid1(VALU_DEP_4)
	v_add_f64 v[29:30], v[29:30], v[11:12]
	v_add_f64 v[52:53], v[50:51], -v[58:59]
	s_delay_alu instid0(VALU_DEP_3) | instskip(NEXT) | instid1(VALU_DEP_3)
	v_add_f64 v[27:28], v[27:28], v[46:47]
	v_add_f64 v[56:57], v[44:45], v[29:30]
	s_delay_alu instid0(VALU_DEP_3) | instskip(NEXT) | instid1(VALU_DEP_2)
	v_add_f64 v[48:49], v[48:49], v[52:53]
	v_cvt_i32_f64_e32 v12, v[56:57]
	s_delay_alu instid0(VALU_DEP_2) | instskip(NEXT) | instid1(VALU_DEP_2)
	v_add_f64 v[27:28], v[48:49], v[27:28]
	v_cvt_f64_i32_e32 v[54:55], v12
	s_delay_alu instid0(VALU_DEP_2) | instskip(NEXT) | instid1(VALU_DEP_2)
	v_add_f64 v[15:16], v[15:16], v[27:28]
	v_add_f64 v[29:30], v[29:30], -v[54:55]
	s_delay_alu instid0(VALU_DEP_2) | instskip(NEXT) | instid1(VALU_DEP_2)
	v_add_f64 v[15:16], v[17:18], v[15:16]
	v_add_f64 v[46:47], v[44:45], v[29:30]
	s_delay_alu instid0(VALU_DEP_1) | instskip(SKIP_1) | instid1(VALU_DEP_2)
	v_add_f64 v[27:28], v[46:47], -v[29:30]
	v_cmp_le_f64_e32 vcc_lo, 0.5, v[46:47]
	v_add_f64 v[17:18], v[44:45], -v[27:28]
	v_add_co_ci_u32_e64 v40, s0, 0, v12, vcc_lo
	v_cndmask_b32_e64 v12, 0, 0x3ff00000, vcc_lo
	s_delay_alu instid0(VALU_DEP_3) | instskip(NEXT) | instid1(VALU_DEP_2)
	v_add_f64 v[15:16], v[15:16], v[17:18]
	v_add_f64 v[17:18], v[46:47], -v[11:12]
	s_delay_alu instid0(VALU_DEP_1) | instskip(NEXT) | instid1(VALU_DEP_1)
	v_add_f64 v[27:28], v[17:18], v[15:16]
	v_mul_f64 v[29:30], v[27:28], s[8:9]
	v_add_f64 v[17:18], v[27:28], -v[17:18]
	s_delay_alu instid0(VALU_DEP_2) | instskip(NEXT) | instid1(VALU_DEP_2)
	v_fma_f64 v[42:43], v[27:28], s[8:9], -v[29:30]
	v_add_f64 v[15:16], v[15:16], -v[17:18]
	s_delay_alu instid0(VALU_DEP_2) | instskip(NEXT) | instid1(VALU_DEP_1)
	v_fma_f64 v[17:18], v[27:28], s[12:13], v[42:43]
	v_fma_f64 v[17:18], v[15:16], s[8:9], v[17:18]
	s_delay_alu instid0(VALU_DEP_1) | instskip(NEXT) | instid1(VALU_DEP_1)
	v_add_f64 v[15:16], v[29:30], v[17:18]
	v_add_f64 v[27:28], v[15:16], -v[29:30]
	s_delay_alu instid0(VALU_DEP_1)
	v_add_f64 v[17:18], v[17:18], -v[27:28]
	s_and_not1_saveexec_b32 s0, s10
	s_cbranch_execz .LBB1_16
	s_branch .LBB1_15
.LBB1_14:                               ;   in Loop: Header=BB1_12 Depth=1
	s_and_not1_saveexec_b32 s0, s10
	s_cbranch_execz .LBB1_16
.LBB1_15:                               ;   in Loop: Header=BB1_12 Depth=1
	v_mul_f64 v[15:16], |v[13:14]|, s[14:15]
	s_mov_b32 s10, s16
	s_delay_alu instid0(VALU_DEP_1) | instskip(NEXT) | instid1(VALU_DEP_1)
	v_rndne_f64_e32 v[27:28], v[15:16]
	v_fma_f64 v[15:16], v[27:28], s[6:7], |v[13:14]|
	v_mul_f64 v[17:18], v[27:28], s[16:17]
	v_cvt_i32_f64_e32 v40, v[27:28]
	s_delay_alu instid0(VALU_DEP_3) | instskip(NEXT) | instid1(VALU_DEP_3)
	v_fma_f64 v[42:43], v[27:28], s[16:17], v[15:16]
	v_add_f64 v[29:30], v[15:16], v[17:18]
	s_delay_alu instid0(VALU_DEP_1) | instskip(NEXT) | instid1(VALU_DEP_3)
	v_add_f64 v[15:16], v[15:16], -v[29:30]
	v_add_f64 v[29:30], v[29:30], -v[42:43]
	s_delay_alu instid0(VALU_DEP_2) | instskip(SKIP_1) | instid1(VALU_DEP_2)
	v_add_f64 v[15:16], v[15:16], v[17:18]
	v_fma_f64 v[17:18], v[27:28], s[10:11], v[17:18]
	v_add_f64 v[15:16], v[29:30], v[15:16]
	s_delay_alu instid0(VALU_DEP_1) | instskip(NEXT) | instid1(VALU_DEP_1)
	v_add_f64 v[15:16], v[15:16], -v[17:18]
	v_fma_f64 v[17:18], v[27:28], s[18:19], v[15:16]
	s_delay_alu instid0(VALU_DEP_1) | instskip(NEXT) | instid1(VALU_DEP_1)
	v_add_f64 v[15:16], v[42:43], v[17:18]
	v_add_f64 v[29:30], v[15:16], -v[42:43]
	s_delay_alu instid0(VALU_DEP_1)
	v_add_f64 v[17:18], v[17:18], -v[29:30]
.LBB1_16:                               ;   in Loop: Header=BB1_12 Depth=1
	s_or_b32 exec_lo, exec_lo, s0
                                        ; implicit-def: $vgpr42
                                        ; implicit-def: $vgpr27_vgpr28
                                        ; implicit-def: $vgpr29_vgpr30
	s_and_saveexec_b32 s0, s1
	s_delay_alu instid0(SALU_CYCLE_1)
	s_xor_b32 s1, exec_lo, s0
	s_cbranch_execz .LBB1_18
; %bb.17:                               ;   in Loop: Header=BB1_12 Depth=1
	v_cmp_le_f64_e64 vcc_lo, 0x7b000000, |v[13:14]|
	s_mov_b32 s8, s6
	s_mov_b32 s13, s11
	s_delay_alu instid0(VALU_DEP_4) | instskip(SKIP_1) | instid1(VALU_DEP_1)
	v_cndmask_b32_e32 v26, v41, v26, vcc_lo
	v_cndmask_b32_e32 v25, v13, v25, vcc_lo
	v_mul_f64 v[27:28], v[23:24], v[25:26]
	v_mul_f64 v[29:30], v[21:22], v[25:26]
	s_delay_alu instid0(VALU_DEP_2) | instskip(NEXT) | instid1(VALU_DEP_2)
	v_fma_f64 v[23:24], v[23:24], v[25:26], -v[27:28]
	v_fma_f64 v[21:22], v[21:22], v[25:26], -v[29:30]
	s_delay_alu instid0(VALU_DEP_2) | instskip(NEXT) | instid1(VALU_DEP_1)
	v_add_f64 v[41:42], v[29:30], v[23:24]
	v_add_f64 v[43:44], v[41:42], -v[29:30]
	v_add_f64 v[47:48], v[27:28], v[41:42]
	s_delay_alu instid0(VALU_DEP_2) | instskip(SKIP_1) | instid1(VALU_DEP_3)
	v_add_f64 v[45:46], v[41:42], -v[43:44]
	v_add_f64 v[23:24], v[23:24], -v[43:44]
	v_ldexp_f64 v[43:44], v[47:48], -2
	v_add_f64 v[27:28], v[47:48], -v[27:28]
	s_delay_alu instid0(VALU_DEP_4) | instskip(NEXT) | instid1(VALU_DEP_3)
	v_add_f64 v[29:30], v[29:30], -v[45:46]
	v_cmp_neq_f64_e64 vcc_lo, 0x7ff00000, |v[43:44]|
	s_delay_alu instid0(VALU_DEP_3) | instskip(NEXT) | instid1(VALU_DEP_3)
	v_add_f64 v[27:28], v[41:42], -v[27:28]
	v_add_f64 v[23:24], v[23:24], v[29:30]
	v_fract_f64_e32 v[29:30], v[43:44]
	s_delay_alu instid0(VALU_DEP_1) | instskip(SKIP_1) | instid1(VALU_DEP_2)
	v_dual_cndmask_b32 v30, 0, v30 :: v_dual_cndmask_b32 v29, 0, v29
	v_mul_f64 v[49:50], v[19:20], v[25:26]
	v_ldexp_f64 v[29:30], v[29:30], 2
	s_delay_alu instid0(VALU_DEP_2) | instskip(SKIP_1) | instid1(VALU_DEP_2)
	v_add_f64 v[45:46], v[49:50], v[21:22]
	v_fma_f64 v[19:20], v[19:20], v[25:26], -v[49:50]
	v_add_f64 v[41:42], v[45:46], v[23:24]
	s_delay_alu instid0(VALU_DEP_1) | instskip(SKIP_1) | instid1(VALU_DEP_2)
	v_add_f64 v[43:44], v[27:28], v[41:42]
	v_add_f64 v[51:52], v[41:42], -v[45:46]
	v_add_f64 v[47:48], v[43:44], v[29:30]
	s_delay_alu instid0(VALU_DEP_2) | instskip(SKIP_2) | instid1(VALU_DEP_4)
	v_add_f64 v[57:58], v[41:42], -v[51:52]
	v_add_f64 v[23:24], v[23:24], -v[51:52]
	;; [unrolled: 1-line block ×3, first 2 shown]
	v_cmp_gt_f64_e32 vcc_lo, 0, v[47:48]
	v_add_f64 v[47:48], v[45:46], -v[49:50]
	s_delay_alu instid0(VALU_DEP_3) | instskip(SKIP_1) | instid1(VALU_DEP_3)
	v_add_f64 v[25:26], v[41:42], -v[25:26]
	v_cndmask_b32_e64 v12, 0, 0x40100000, vcc_lo
	v_add_f64 v[55:56], v[45:46], -v[47:48]
	v_add_f64 v[21:22], v[21:22], -v[47:48]
	;; [unrolled: 1-line block ×3, first 2 shown]
	s_delay_alu instid0(VALU_DEP_4) | instskip(NEXT) | instid1(VALU_DEP_4)
	v_add_f64 v[29:30], v[29:30], v[11:12]
	v_add_f64 v[47:48], v[49:50], -v[55:56]
	s_delay_alu instid0(VALU_DEP_3) | instskip(NEXT) | instid1(VALU_DEP_3)
	v_add_f64 v[23:24], v[23:24], v[45:46]
	v_add_f64 v[53:54], v[43:44], v[29:30]
	s_delay_alu instid0(VALU_DEP_3) | instskip(NEXT) | instid1(VALU_DEP_2)
	v_add_f64 v[21:22], v[21:22], v[47:48]
	v_cvt_i32_f64_e32 v12, v[53:54]
	s_delay_alu instid0(VALU_DEP_2) | instskip(NEXT) | instid1(VALU_DEP_2)
	v_add_f64 v[21:22], v[21:22], v[23:24]
	v_cvt_f64_i32_e32 v[51:52], v12
	s_delay_alu instid0(VALU_DEP_2) | instskip(NEXT) | instid1(VALU_DEP_2)
	v_add_f64 v[19:20], v[19:20], v[21:22]
	v_add_f64 v[29:30], v[29:30], -v[51:52]
	s_delay_alu instid0(VALU_DEP_2) | instskip(NEXT) | instid1(VALU_DEP_2)
	v_add_f64 v[19:20], v[25:26], v[19:20]
	v_add_f64 v[23:24], v[43:44], v[29:30]
	s_delay_alu instid0(VALU_DEP_1) | instskip(SKIP_1) | instid1(VALU_DEP_2)
	v_add_f64 v[21:22], v[23:24], -v[29:30]
	v_cmp_le_f64_e32 vcc_lo, 0.5, v[23:24]
	v_add_f64 v[21:22], v[43:44], -v[21:22]
	v_add_co_ci_u32_e64 v42, s0, 0, v12, vcc_lo
	v_cndmask_b32_e64 v12, 0, 0x3ff00000, vcc_lo
	s_delay_alu instid0(VALU_DEP_3) | instskip(NEXT) | instid1(VALU_DEP_2)
	v_add_f64 v[19:20], v[19:20], v[21:22]
	v_add_f64 v[21:22], v[23:24], -v[11:12]
	s_delay_alu instid0(VALU_DEP_1) | instskip(NEXT) | instid1(VALU_DEP_1)
	v_add_f64 v[23:24], v[21:22], v[19:20]
	v_mul_f64 v[25:26], v[23:24], s[8:9]
	v_add_f64 v[21:22], v[23:24], -v[21:22]
	s_delay_alu instid0(VALU_DEP_2) | instskip(NEXT) | instid1(VALU_DEP_2)
	v_fma_f64 v[27:28], v[23:24], s[8:9], -v[25:26]
	v_add_f64 v[19:20], v[19:20], -v[21:22]
	s_delay_alu instid0(VALU_DEP_2) | instskip(NEXT) | instid1(VALU_DEP_1)
	v_fma_f64 v[21:22], v[23:24], s[12:13], v[27:28]
	v_fma_f64 v[19:20], v[19:20], s[8:9], v[21:22]
	s_delay_alu instid0(VALU_DEP_1) | instskip(NEXT) | instid1(VALU_DEP_1)
	v_add_f64 v[27:28], v[25:26], v[19:20]
	v_add_f64 v[21:22], v[27:28], -v[25:26]
	s_delay_alu instid0(VALU_DEP_1)
	v_add_f64 v[29:30], v[19:20], -v[21:22]
	s_and_not1_saveexec_b32 s0, s1
	s_cbranch_execz .LBB1_11
	s_branch .LBB1_19
.LBB1_18:                               ;   in Loop: Header=BB1_12 Depth=1
	s_and_not1_saveexec_b32 s0, s1
	s_cbranch_execz .LBB1_11
.LBB1_19:                               ;   in Loop: Header=BB1_12 Depth=1
	v_mul_f64 v[19:20], |v[13:14]|, s[14:15]
	s_mov_b32 s10, s16
	s_delay_alu instid0(VALU_DEP_1) | instskip(NEXT) | instid1(VALU_DEP_1)
	v_rndne_f64_e32 v[19:20], v[19:20]
	v_fma_f64 v[21:22], v[19:20], s[6:7], |v[13:14]|
	v_mul_f64 v[23:24], v[19:20], s[16:17]
	v_cvt_i32_f64_e32 v42, v[19:20]
	s_delay_alu instid0(VALU_DEP_3) | instskip(NEXT) | instid1(VALU_DEP_3)
	v_fma_f64 v[29:30], v[19:20], s[16:17], v[21:22]
	v_add_f64 v[25:26], v[21:22], v[23:24]
	s_delay_alu instid0(VALU_DEP_1) | instskip(NEXT) | instid1(VALU_DEP_3)
	v_add_f64 v[21:22], v[21:22], -v[25:26]
	v_add_f64 v[25:26], v[25:26], -v[29:30]
	s_delay_alu instid0(VALU_DEP_2) | instskip(SKIP_1) | instid1(VALU_DEP_2)
	v_add_f64 v[21:22], v[21:22], v[23:24]
	v_fma_f64 v[23:24], v[19:20], s[10:11], v[23:24]
	v_add_f64 v[21:22], v[25:26], v[21:22]
	s_delay_alu instid0(VALU_DEP_1) | instskip(NEXT) | instid1(VALU_DEP_1)
	v_add_f64 v[21:22], v[21:22], -v[23:24]
	v_fma_f64 v[21:22], v[19:20], s[18:19], v[21:22]
	s_delay_alu instid0(VALU_DEP_1) | instskip(NEXT) | instid1(VALU_DEP_1)
	v_add_f64 v[27:28], v[29:30], v[21:22]
	v_add_f64 v[23:24], v[27:28], -v[29:30]
	s_delay_alu instid0(VALU_DEP_1)
	v_add_f64 v[29:30], v[21:22], -v[23:24]
	s_branch .LBB1_11
.LBB1_20:
	s_clause 0x6
	scratch_load_b64 v[2:3], off, off offset:64
	scratch_load_b64 v[4:5], off, off offset:48
	;; [unrolled: 1-line block ×7, first 2 shown]
	v_mul_u32_u24_e32 v19, 0x48, v39
	v_add_nc_u32_e32 v21, 0x800, v6
	s_mov_b32 s0, 0x667f3bcd
	s_mov_b32 s1, 0x3fe6a09e
	s_waitcnt vmcnt(6)
	ds_store_2addr_b64 v6, v[0:1], v[2:3] offset1:72
	s_waitcnt vmcnt(1)
	ds_store_2addr_b64 v6, v[9:10], v[15:16] offset0:144 offset1:216
	s_waitcnt vmcnt(0)
	ds_store_2addr_b64 v21, v[11:12], v[17:18] offset0:32 offset1:104
	ds_store_2addr_b64 v21, v[4:5], v[13:14] offset0:176 offset1:248
	v_or_b32_e32 v19, v19, v38
	s_waitcnt lgkmcnt(0)
	s_waitcnt_vscnt null, 0x0
	s_barrier
	buffer_gl0_inv
	v_lshlrev_b32_e32 v22, 3, v19
	ds_load_2addr_b64 v[0:3], v22 offset1:8
	ds_load_2addr_b64 v[9:12], v22 offset0:16 offset1:24
	ds_load_2addr_b64 v[13:16], v22 offset0:32 offset1:40
	;; [unrolled: 1-line block ×3, first 2 shown]
	s_waitcnt lgkmcnt(3)
	s_clause 0x1
	scratch_store_b64 off, v[0:1], off
	scratch_store_b64 off, v[2:3], off offset:16
	s_waitcnt lgkmcnt(2)
	s_clause 0x1
	scratch_store_b64 off, v[9:10], off offset:32
	scratch_store_b64 off, v[11:12], off offset:48
	s_waitcnt lgkmcnt(1)
	s_clause 0x1
	scratch_store_b64 off, v[13:14], off offset:64
	;; [unrolled: 4-line block ×3, first 2 shown]
	scratch_store_b64 off, v[19:20], off offset:112
	s_waitcnt_vscnt null, 0x0
	s_barrier
	buffer_gl0_inv
	s_clause 0x7
	scratch_load_b64 v[0:1], off, off offset:8
	scratch_load_b64 v[2:3], off, off offset:72
	;; [unrolled: 1-line block ×8, first 2 shown]
	s_waitcnt vmcnt(6)
	ds_store_2addr_b64 v6, v[0:1], v[2:3] offset1:72
	s_waitcnt vmcnt(1)
	ds_store_2addr_b64 v6, v[9:10], v[15:16] offset0:144 offset1:216
	s_waitcnt vmcnt(0)
	ds_store_2addr_b64 v21, v[11:12], v[17:18] offset0:32 offset1:104
	ds_store_2addr_b64 v21, v[4:5], v[13:14] offset0:176 offset1:248
	s_waitcnt lgkmcnt(0)
	s_barrier
	buffer_gl0_inv
	ds_load_2addr_b64 v[0:3], v22 offset0:16 offset1:24
	ds_load_2addr_b64 v[9:12], v22 offset0:48 offset1:56
	s_waitcnt lgkmcnt(1)
	scratch_store_b64 off, v[2:3], off offset:56
	s_waitcnt lgkmcnt(0)
	scratch_store_b64 off, v[11:12], off offset:120
	s_clause 0x1
	scratch_load_b128 v[2:5], off, off offset:48
	scratch_load_b128 v[11:14], off, off offset:112
	ds_load_2addr_b64 v[15:18], v22 offset1:8
	ds_load_2addr_b64 v[19:22], v22 offset0:32 offset1:40
	s_waitcnt lgkmcnt(1)
	scratch_store_b64 off, v[17:18], off offset:24
	s_waitcnt lgkmcnt(0)
	scratch_store_b64 off, v[21:22], off offset:88
	s_clause 0x1
	scratch_load_b128 v[21:24], off, off offset:16
	scratch_load_b128 v[25:28], off, off offset:80
	s_clause 0x1
	scratch_store_b64 off, v[0:1], off offset:40
	scratch_store_b64 off, v[9:10], off offset:104
	s_clause 0x1
	scratch_load_b128 v[38:41], off, off offset:32
	scratch_load_b128 v[42:45], off, off offset:96
	s_clause 0x1
	scratch_store_b64 off, v[15:16], off offset:8
	scratch_store_b64 off, v[19:20], off offset:72
	s_clause 0x1
	scratch_load_b128 v[15:18], off, off
	scratch_load_b128 v[46:49], off, off offset:64
	s_waitcnt vmcnt(6)
	v_add_f64 v[0:1], v[2:3], -v[11:12]
	v_add_f64 v[9:10], v[4:5], -v[13:14]
	v_add_f64 v[2:3], v[2:3], v[11:12]
	v_add_f64 v[4:5], v[4:5], v[13:14]
	s_waitcnt vmcnt(4)
	v_add_f64 v[19:20], v[21:22], -v[25:26]
	v_add_f64 v[29:30], v[23:24], -v[27:28]
	s_waitcnt vmcnt(2)
	v_add_f64 v[11:12], v[38:39], -v[42:43]
	v_add_f64 v[13:14], v[40:41], -v[44:45]
	v_add_f64 v[38:39], v[38:39], v[42:43]
	v_add_f64 v[40:41], v[40:41], v[44:45]
	v_add_f64 v[50:51], -v[0:1], -v[9:10]
	v_add_f64 v[0:1], v[0:1], -v[9:10]
	v_add_f64 v[9:10], v[21:22], v[25:26]
	v_add_f64 v[21:22], v[23:24], v[27:28]
	s_waitcnt vmcnt(0)
	v_add_f64 v[27:28], v[15:16], v[46:47]
	v_add_f64 v[15:16], v[15:16], -v[46:47]
	v_add_f64 v[23:24], v[19:20], -v[29:30]
	v_add_f64 v[19:20], v[19:20], v[29:30]
	v_add_f64 v[29:30], v[17:18], v[48:49]
	v_add_f64 v[17:18], v[17:18], -v[48:49]
	v_fma_f64 v[46:47], v[11:12], 0, -v[13:14]
	v_fma_f64 v[11:12], v[13:14], 0, v[11:12]
	v_mul_f64 v[25:26], v[50:51], s[0:1]
	v_mul_f64 v[0:1], v[0:1], s[0:1]
	v_add_f64 v[42:43], v[9:10], -v[2:3]
	v_add_f64 v[44:45], v[21:22], -v[4:5]
	v_add_f64 v[50:51], v[27:28], v[38:39]
	v_add_f64 v[54:55], v[9:10], v[2:3]
	;; [unrolled: 1-line block ×3, first 2 shown]
	v_add_f64 v[27:28], v[27:28], -v[38:39]
	v_add_f64 v[52:53], v[29:30], v[40:41]
	v_add_f64 v[29:30], v[29:30], -v[40:41]
	v_add_f64 v[21:22], v[15:16], v[46:47]
	v_add_f64 v[38:39], v[17:18], v[11:12]
	v_add_f64 v[15:16], v[15:16], -v[46:47]
	v_add_f64 v[11:12], v[17:18], -v[11:12]
	v_fma_f64 v[13:14], v[23:24], s[0:1], -v[25:26]
	v_fma_f64 v[48:49], v[19:20], s[0:1], -v[0:1]
	v_fma_f64 v[23:24], v[23:24], s[0:1], v[25:26]
	v_fma_f64 v[2:3], v[42:43], 0, -v[44:45]
	v_fma_f64 v[9:10], v[44:45], 0, v[42:43]
	v_fma_f64 v[0:1], v[19:20], s[0:1], v[0:1]
	v_add_f64 v[19:20], v[50:51], -v[54:55]
	v_add_f64 v[25:26], v[52:53], -v[4:5]
	v_add_f64 v[4:5], v[52:53], v[4:5]
	v_fma_f64 v[17:18], v[13:14], 0, -v[48:49]
	v_fma_f64 v[13:14], v[48:49], 0, v[13:14]
	v_add_f64 v[40:41], v[27:28], v[2:3]
	v_add_f64 v[42:43], v[29:30], v[9:10]
	v_add_f64 v[27:28], v[27:28], -v[2:3]
	v_add_f64 v[29:30], v[29:30], -v[9:10]
	v_add_f64 v[44:45], v[21:22], v[23:24]
	v_add_f64 v[46:47], v[38:39], v[0:1]
	v_add_f64 v[21:22], v[21:22], -v[23:24]
	v_add_f64 v[23:24], v[38:39], -v[0:1]
	v_ldexp_f64 v[0:1], v[19:20], -9
	v_ldexp_f64 v[2:3], v[25:26], -9
	v_add_f64 v[38:39], v[15:16], v[17:18]
	v_add_f64 v[48:49], v[11:12], v[13:14]
	v_add_f64 v[56:57], v[15:16], -v[17:18]
	v_add_f64 v[58:59], v[11:12], -v[13:14]
	v_ldexp_f64 v[9:10], v[40:41], -9
	v_ldexp_f64 v[11:12], v[42:43], -9
	;; [unrolled: 1-line block ×8, first 2 shown]
	scratch_store_b128 off, v[0:3], off offset:16
	scratch_load_b128 v[0:3], v34, off
	s_clause 0x1
	scratch_store_b128 off, v[9:12], off offset:32
	scratch_store_b128 off, v[13:16], off offset:48
	v_ldexp_f64 v[25:26], v[38:39], -9
	v_ldexp_f64 v[27:28], v[48:49], -9
	;; [unrolled: 1-line block ×4, first 2 shown]
	s_clause 0x1
	scratch_load_b128 v[9:12], v33, off
	scratch_load_b128 v[13:16], v32, off
	s_clause 0x1
	scratch_store_b128 off, v[17:20], off offset:64
	scratch_store_b128 off, v[21:24], off offset:80
	s_clause 0x1
	scratch_load_b128 v[17:20], v31, off
	scratch_load_b128 v[21:24], v37, off
	v_add_f64 v[33:34], v[50:51], v[54:55]
	scratch_store_b128 off, v[25:28], off offset:96
	scratch_load_b128 v[25:28], v36, off
	scratch_store_b128 off, v[38:41], off offset:112
	scratch_load_b128 v[29:32], v35, off
	v_ldexp_f64 v[35:36], v[4:5], -9
	v_add_co_u32 v4, vcc_lo, v7, 0x1400
	v_add_co_ci_u32_e32 v5, vcc_lo, 0, v8, vcc_lo
	v_ldexp_f64 v[33:34], v[33:34], -9
	scratch_store_b128 off, v[33:36], off
	global_store_b128 v[7:8], v[33:36], off
	s_waitcnt vmcnt(3)
	s_clause 0x1
	global_store_b128 v[4:5], v[17:20], off offset:-4096
	global_store_b128 v[4:5], v[0:3], off offset:-1024
	s_waitcnt vmcnt(2)
	s_clause 0x1
	global_store_b128 v[4:5], v[21:24], off
	global_store_b128 v[4:5], v[9:12], off offset:-3072
	s_waitcnt vmcnt(1)
	s_clause 0x1
	global_store_b128 v[4:5], v[25:28], off offset:-2048
	global_store_b128 v[4:5], v[13:16], off offset:1024
	s_waitcnt vmcnt(0)
	global_store_b128 v[4:5], v[29:32], off offset:2048
	s_endpgm
	.section	.rodata,"a",@progbits
	.p2align	6, 0x0
	.amdhsa_kernel _Z10ifft1D_512P15HIP_vector_typeIdLj2EE
		.amdhsa_group_segment_fixed_size 4608
		.amdhsa_private_segment_fixed_size 144
		.amdhsa_kernarg_size 8
		.amdhsa_user_sgpr_count 15
		.amdhsa_user_sgpr_dispatch_ptr 0
		.amdhsa_user_sgpr_queue_ptr 0
		.amdhsa_user_sgpr_kernarg_segment_ptr 1
		.amdhsa_user_sgpr_dispatch_id 0
		.amdhsa_user_sgpr_private_segment_size 0
		.amdhsa_wavefront_size32 1
		.amdhsa_uses_dynamic_stack 0
		.amdhsa_enable_private_segment 1
		.amdhsa_system_sgpr_workgroup_id_x 1
		.amdhsa_system_sgpr_workgroup_id_y 0
		.amdhsa_system_sgpr_workgroup_id_z 0
		.amdhsa_system_sgpr_workgroup_info 0
		.amdhsa_system_vgpr_workitem_id 0
		.amdhsa_next_free_vgpr 67
		.amdhsa_next_free_sgpr 46
		.amdhsa_reserve_vcc 1
		.amdhsa_float_round_mode_32 0
		.amdhsa_float_round_mode_16_64 0
		.amdhsa_float_denorm_mode_32 3
		.amdhsa_float_denorm_mode_16_64 3
		.amdhsa_dx10_clamp 1
		.amdhsa_ieee_mode 1
		.amdhsa_fp16_overflow 0
		.amdhsa_workgroup_processor_mode 1
		.amdhsa_memory_ordered 1
		.amdhsa_forward_progress 0
		.amdhsa_shared_vgpr_count 0
		.amdhsa_exception_fp_ieee_invalid_op 0
		.amdhsa_exception_fp_denorm_src 0
		.amdhsa_exception_fp_ieee_div_zero 0
		.amdhsa_exception_fp_ieee_overflow 0
		.amdhsa_exception_fp_ieee_underflow 0
		.amdhsa_exception_fp_ieee_inexact 0
		.amdhsa_exception_int_div_zero 0
	.end_amdhsa_kernel
	.text
.Lfunc_end1:
	.size	_Z10ifft1D_512P15HIP_vector_typeIdLj2EE, .Lfunc_end1-_Z10ifft1D_512P15HIP_vector_typeIdLj2EE
                                        ; -- End function
	.section	.AMDGPU.csdata,"",@progbits
; Kernel info:
; codeLenInByte = 9012
; NumSgprs: 48
; NumVgprs: 67
; ScratchSize: 144
; MemoryBound: 0
; FloatMode: 240
; IeeeMode: 1
; LDSByteSize: 4608 bytes/workgroup (compile time only)
; SGPRBlocks: 5
; VGPRBlocks: 8
; NumSGPRsForWavesPerEU: 48
; NumVGPRsForWavesPerEU: 67
; Occupancy: 16
; WaveLimiterHint : 1
; COMPUTE_PGM_RSRC2:SCRATCH_EN: 1
; COMPUTE_PGM_RSRC2:USER_SGPR: 15
; COMPUTE_PGM_RSRC2:TRAP_HANDLER: 0
; COMPUTE_PGM_RSRC2:TGID_X_EN: 1
; COMPUTE_PGM_RSRC2:TGID_Y_EN: 0
; COMPUTE_PGM_RSRC2:TGID_Z_EN: 0
; COMPUTE_PGM_RSRC2:TIDIG_COMP_CNT: 0
	.text
	.p2alignl 7, 3214868480
	.fill 96, 4, 3214868480
	.type	__const._Z9fft1D_512P15HIP_vector_typeIdLj2EE.reversed,@object ; @__const._Z9fft1D_512P15HIP_vector_typeIdLj2EE.reversed
	.section	.rodata.cst32,"aM",@progbits,32
	.p2align	4, 0x0
__const._Z9fft1D_512P15HIP_vector_typeIdLj2EE.reversed:
	.long	0                               ; 0x0
	.long	4                               ; 0x4
	;; [unrolled: 1-line block ×8, first 2 shown]
	.size	__const._Z9fft1D_512P15HIP_vector_typeIdLj2EE.reversed, 32

	.type	__const._Z10ifft1D_512P15HIP_vector_typeIdLj2EE.reversed,@object ; @__const._Z10ifft1D_512P15HIP_vector_typeIdLj2EE.reversed
	.p2align	4, 0x0
__const._Z10ifft1D_512P15HIP_vector_typeIdLj2EE.reversed:
	.long	0                               ; 0x0
	.long	4                               ; 0x4
	.long	2                               ; 0x2
	.long	6                               ; 0x6
	.long	1                               ; 0x1
	.long	5                               ; 0x5
	.long	3                               ; 0x3
	.long	7                               ; 0x7
	.size	__const._Z10ifft1D_512P15HIP_vector_typeIdLj2EE.reversed, 32

	.type	__hip_cuid_b27946faf7510f97,@object ; @__hip_cuid_b27946faf7510f97
	.section	.bss,"aw",@nobits
	.globl	__hip_cuid_b27946faf7510f97
__hip_cuid_b27946faf7510f97:
	.byte	0                               ; 0x0
	.size	__hip_cuid_b27946faf7510f97, 1

	.ident	"AMD clang version 19.0.0git (https://github.com/RadeonOpenCompute/llvm-project roc-6.4.0 25133 c7fe45cf4b819c5991fe208aaa96edf142730f1d)"
	.section	".note.GNU-stack","",@progbits
	.addrsig
	.addrsig_sym __hip_cuid_b27946faf7510f97
	.amdgpu_metadata
---
amdhsa.kernels:
  - .args:
      - .address_space:  global
        .offset:         0
        .size:           8
        .value_kind:     global_buffer
    .group_segment_fixed_size: 4608
    .kernarg_segment_align: 8
    .kernarg_segment_size: 8
    .language:       OpenCL C
    .language_version:
      - 2
      - 0
    .max_flat_workgroup_size: 1024
    .name:           _Z9fft1D_512P15HIP_vector_typeIdLj2EE
    .private_segment_fixed_size: 144
    .sgpr_count:     48
    .sgpr_spill_count: 0
    .symbol:         _Z9fft1D_512P15HIP_vector_typeIdLj2EE.kd
    .uniform_work_group_size: 1
    .uses_dynamic_stack: false
    .vgpr_count:     67
    .vgpr_spill_count: 0
    .wavefront_size: 32
    .workgroup_processor_mode: 1
  - .args:
      - .address_space:  global
        .offset:         0
        .size:           8
        .value_kind:     global_buffer
    .group_segment_fixed_size: 4608
    .kernarg_segment_align: 8
    .kernarg_segment_size: 8
    .language:       OpenCL C
    .language_version:
      - 2
      - 0
    .max_flat_workgroup_size: 1024
    .name:           _Z10ifft1D_512P15HIP_vector_typeIdLj2EE
    .private_segment_fixed_size: 144
    .sgpr_count:     48
    .sgpr_spill_count: 0
    .symbol:         _Z10ifft1D_512P15HIP_vector_typeIdLj2EE.kd
    .uniform_work_group_size: 1
    .uses_dynamic_stack: false
    .vgpr_count:     67
    .vgpr_spill_count: 0
    .wavefront_size: 32
    .workgroup_processor_mode: 1
amdhsa.target:   amdgcn-amd-amdhsa--gfx1100
amdhsa.version:
  - 1
  - 2
...

	.end_amdgpu_metadata
